;; amdgpu-corpus repo=ROCm/aiter kind=compiled arch=gfx1100 opt=O3
	.text
	.amdgcn_target "amdgcn-amd-amdhsa--gfx1100"
	.amdhsa_code_object_version 6
	.section	.text._Z18LLGemm_Silu_kernelILi2EEvP15HIP_vector_typeIfLj4EEP7__half2PDF16_i,"axG",@progbits,_Z18LLGemm_Silu_kernelILi2EEvP15HIP_vector_typeIfLj4EEP7__half2PDF16_i,comdat
	.protected	_Z18LLGemm_Silu_kernelILi2EEvP15HIP_vector_typeIfLj4EEP7__half2PDF16_i ; -- Begin function _Z18LLGemm_Silu_kernelILi2EEvP15HIP_vector_typeIfLj4EEP7__half2PDF16_i
	.globl	_Z18LLGemm_Silu_kernelILi2EEvP15HIP_vector_typeIfLj4EEP7__half2PDF16_i
	.p2align	8
	.type	_Z18LLGemm_Silu_kernelILi2EEvP15HIP_vector_typeIfLj4EEP7__half2PDF16_i,@function
_Z18LLGemm_Silu_kernelILi2EEvP15HIP_vector_typeIfLj4EEP7__half2PDF16_i: ; @_Z18LLGemm_Silu_kernelILi2EEvP15HIP_vector_typeIfLj4EEP7__half2PDF16_i
; %bb.0:
	s_clause 0x2
	s_load_b32 s3, s[0:1], 0x2c
	s_load_b32 s8, s[0:1], 0x18
	s_load_b128 s[4:7], s[0:1], 0x0
	s_and_b32 s2, s15, 0x7fffffff
	s_waitcnt lgkmcnt(0)
	s_and_b32 s3, s3, 0xffff
	s_add_i32 s8, s2, s8
	v_mad_u64_u32 v[2:3], null, s2, s3, v[0:1]
	v_mov_b32_e32 v3, 0
	v_mad_u64_u32 v[6:7], null, s8, s3, v[0:1]
	v_lshlrev_b32_e32 v1, 4, v0
	s_delay_alu instid0(VALU_DEP_3)
	v_mov_b32_e32 v7, v3
	v_lshlrev_b64 v[8:9], 4, v[2:3]
	global_load_b128 v[2:5], v1, s[6:7]
	v_lshlrev_b64 v[6:7], 4, v[6:7]
	v_add_co_u32 v8, vcc_lo, s4, v8
	v_add_co_ci_u32_e32 v9, vcc_lo, s5, v9, vcc_lo
	s_delay_alu instid0(VALU_DEP_3) | instskip(NEXT) | instid1(VALU_DEP_4)
	v_add_co_u32 v10, vcc_lo, s4, v6
	v_add_co_ci_u32_e32 v11, vcc_lo, s5, v7, vcc_lo
	s_mov_b32 s4, exec_lo
	s_clause 0x1
	global_load_b128 v[6:9], v[8:9], off slc dlc
	global_load_b128 v[10:13], v[10:11], off slc dlc
	s_waitcnt vmcnt(1)
	v_pk_mul_f16 v6, v2, v6
	s_waitcnt vmcnt(0)
	v_pk_mul_f16 v2, v2, v10
	s_delay_alu instid0(VALU_DEP_2) | instskip(NEXT) | instid1(VALU_DEP_2)
	v_pk_fma_f16 v6, v7, v3, v6
	v_pk_fma_f16 v2, v11, v3, v2
	s_delay_alu instid0(VALU_DEP_2) | instskip(NEXT) | instid1(VALU_DEP_2)
	v_pk_fma_f16 v3, v8, v4, v6
	v_pk_fma_f16 v2, v12, v4, v2
	v_mbcnt_lo_u32_b32 v6, -1, 0
	s_delay_alu instid0(VALU_DEP_3) | instskip(NEXT) | instid1(VALU_DEP_3)
	v_pk_fma_f16 v3, v9, v5, v3
	v_pk_fma_f16 v2, v13, v5, v2
	s_delay_alu instid0(VALU_DEP_3)
	v_or_b32_e32 v4, 32, v6
	v_xor_b32_e32 v9, 4, v6
	v_xor_b32_e32 v10, 2, v6
	v_lshrrev_b32_e32 v5, 16, v3
	v_lshrrev_b32_e32 v7, 16, v2
	v_cvt_f32_f16_e32 v3, v3
	v_cvt_f32_f16_e32 v2, v2
	v_cmp_gt_i32_e32 vcc_lo, 32, v4
	v_cvt_f32_f16_e32 v5, v5
	v_cvt_f32_f16_e32 v7, v7
	v_xor_b32_e32 v11, 1, v6
	s_delay_alu instid0(VALU_DEP_3) | instskip(NEXT) | instid1(VALU_DEP_3)
	v_dual_cndmask_b32 v4, v6, v4 :: v_dual_add_f32 v3, v3, v5
	v_add_f32_e32 v5, v2, v7
	v_xor_b32_e32 v2, 16, v6
	s_delay_alu instid0(VALU_DEP_3) | instskip(NEXT) | instid1(VALU_DEP_2)
	v_lshlrev_b32_e32 v4, 2, v4
	v_cmp_gt_i32_e32 vcc_lo, 32, v2
	v_cndmask_b32_e32 v2, v6, v2, vcc_lo
	s_delay_alu instid0(VALU_DEP_1)
	v_lshlrev_b32_e32 v2, 2, v2
	ds_bpermute_b32 v7, v4, v3
	ds_bpermute_b32 v4, v4, v5
	s_waitcnt lgkmcnt(0)
	v_dual_add_f32 v7, v3, v7 :: v_dual_add_f32 v4, v5, v4
	v_xor_b32_e32 v3, 8, v6
	ds_bpermute_b32 v5, v2, v7
	ds_bpermute_b32 v8, v2, v4
	v_cmp_gt_i32_e32 vcc_lo, 32, v3
	v_cndmask_b32_e32 v3, v6, v3, vcc_lo
	v_cmp_gt_i32_e32 vcc_lo, 32, v9
	v_cndmask_b32_e32 v9, v6, v9, vcc_lo
	v_cmp_gt_i32_e32 vcc_lo, 32, v10
	s_delay_alu instid0(VALU_DEP_4)
	v_dual_cndmask_b32 v10, v6, v10 :: v_dual_lshlrev_b32 v3, 2, v3
	v_cmp_gt_i32_e32 vcc_lo, 32, v11
	s_waitcnt lgkmcnt(1)
	v_dual_add_f32 v5, v7, v5 :: v_dual_cndmask_b32 v6, v6, v11
	s_waitcnt lgkmcnt(0)
	v_add_f32_e32 v7, v4, v8
	ds_bpermute_b32 v4, v3, v5
	v_lshlrev_b32_e32 v6, 2, v6
	ds_bpermute_b32 v8, v3, v7
	s_waitcnt lgkmcnt(1)
	v_dual_add_f32 v5, v5, v4 :: v_dual_lshlrev_b32 v4, 2, v9
	s_waitcnt lgkmcnt(0)
	v_add_f32_e32 v7, v7, v8
	ds_bpermute_b32 v8, v4, v5
	ds_bpermute_b32 v9, v4, v7
	s_waitcnt lgkmcnt(1)
	v_dual_add_f32 v8, v5, v8 :: v_dual_lshlrev_b32 v5, 2, v10
	s_waitcnt lgkmcnt(0)
	v_add_f32_e32 v9, v7, v9
	ds_bpermute_b32 v7, v5, v8
	ds_bpermute_b32 v10, v5, v9
	s_waitcnt lgkmcnt(1)
	v_dual_add_f32 v7, v8, v7 :: v_dual_and_b32 v8, 63, v0
	s_waitcnt lgkmcnt(0)
	v_add_f32_e32 v9, v9, v10
	ds_bpermute_b32 v10, v6, v7
	ds_bpermute_b32 v11, v6, v9
	v_cmpx_gt_u32_e32 2, v8
	s_cbranch_execz .LBB0_2
; %bb.1:
	v_lshrrev_b32_e32 v12, 4, v0
	s_waitcnt lgkmcnt(1)
	v_add_f32_e32 v7, v7, v10
	v_cmp_eq_u32_e32 vcc_lo, 1, v8
	s_waitcnt lgkmcnt(0)
	v_dual_add_f32 v9, v9, v11 :: v_dual_and_b32 v12, 60, v12
	s_delay_alu instid0(VALU_DEP_1) | instskip(NEXT) | instid1(VALU_DEP_2)
	v_cndmask_b32_e32 v7, v7, v9, vcc_lo
	v_lshl_or_b32 v10, v8, 8, v12
	ds_store_b32 v10, v7
.LBB0_2:
	s_or_b32 exec_lo, exec_lo, s4
	s_waitcnt lgkmcnt(0)
	s_barrier
	buffer_gl0_inv
	s_mov_b32 s4, exec_lo
	v_cmpx_gt_u32_e32 32, v0
	s_cbranch_execz .LBB0_7
; %bb.3:
	v_dual_mov_b32 v7, 0 :: v_dual_and_b32 v8, 15, v0
	s_lshr_b32 s3, s3, 6
	s_delay_alu instid0(VALU_DEP_1) | instid1(SALU_CYCLE_1)
	v_cmp_gt_u32_e32 vcc_lo, s3, v8
	s_and_saveexec_b32 s3, vcc_lo
	s_cbranch_execz .LBB0_5
; %bb.4:
	v_lshlrev_b32_e32 v7, 2, v8
	s_delay_alu instid0(VALU_DEP_1)
	v_and_or_b32 v1, 0x3f00, v1, v7
	ds_load_b32 v7, v1
.LBB0_5:
	s_or_b32 exec_lo, exec_lo, s3
	s_waitcnt lgkmcnt(0)
	ds_bpermute_b32 v1, v3, v7
	v_cmp_eq_u32_e32 vcc_lo, 0, v0
	s_waitcnt lgkmcnt(0)
	v_add_f32_e32 v1, v7, v1
	ds_bpermute_b32 v3, v4, v1
	s_waitcnt lgkmcnt(0)
	v_add_f32_e32 v1, v1, v3
	ds_bpermute_b32 v3, v5, v1
	;; [unrolled: 3-line block ×4, first 2 shown]
	s_and_b32 exec_lo, exec_lo, vcc_lo
	s_cbranch_execz .LBB0_7
; %bb.6:
	v_mul_f32_e32 v0, 0xbfb8aa3b, v3
	s_lshl_b32 s2, s2, 1
	v_cmp_nlt_f32_e32 vcc_lo, 0x42ce8ed0, v3
	s_load_b64 s[0:1], s[0:1], 0x10
	s_delay_alu instid0(VALU_DEP_2) | instskip(SKIP_1) | instid1(VALU_DEP_2)
	v_rndne_f32_e32 v2, v0
	v_fma_f32 v4, 0xbfb8aa3b, v3, -v0
	v_sub_f32_e32 v0, v0, v2
	s_delay_alu instid0(VALU_DEP_2) | instskip(SKIP_1) | instid1(VALU_DEP_2)
	v_fmamk_f32 v4, v3, 0xb2a5705f, v4
	v_cvt_i32_f32_e32 v2, v2
	v_add_f32_e32 v0, v0, v4
	s_delay_alu instid0(VALU_DEP_1) | instskip(SKIP_2) | instid1(VALU_DEP_1)
	v_exp_f32_e32 v0, v0
	s_waitcnt_depctr 0xfff
	v_ldexp_f32 v0, v0, v2
	v_cndmask_b32_e32 v0, 0, v0, vcc_lo
	v_cmp_ngt_f32_e32 vcc_lo, 0xc2b17218, v3
	s_delay_alu instid0(VALU_DEP_2) | instskip(NEXT) | instid1(VALU_DEP_1)
	v_cndmask_b32_e32 v0, 0x7f800000, v0, vcc_lo
	v_add_f32_e32 v0, 1.0, v0
	s_delay_alu instid0(VALU_DEP_1) | instskip(SKIP_1) | instid1(VALU_DEP_2)
	v_div_scale_f32 v2, null, v0, v0, v3
	v_div_scale_f32 v6, vcc_lo, v3, v0, v3
	v_rcp_f32_e32 v4, v2
	s_waitcnt_depctr 0xfff
	v_fma_f32 v5, -v2, v4, 1.0
	s_delay_alu instid0(VALU_DEP_1) | instskip(NEXT) | instid1(VALU_DEP_1)
	v_fmac_f32_e32 v4, v5, v4
	v_mul_f32_e32 v5, v6, v4
	s_delay_alu instid0(VALU_DEP_1) | instskip(NEXT) | instid1(VALU_DEP_1)
	v_fma_f32 v7, -v2, v5, v6
	v_fmac_f32_e32 v5, v7, v4
	s_delay_alu instid0(VALU_DEP_1) | instskip(NEXT) | instid1(VALU_DEP_1)
	v_fma_f32 v2, -v2, v5, v6
	v_div_fmas_f32 v2, v2, v4, v5
	s_delay_alu instid0(VALU_DEP_1) | instskip(SKIP_1) | instid1(VALU_DEP_1)
	v_div_fixup_f32 v0, v2, v0, v3
	s_waitcnt lgkmcnt(0)
	v_fma_mixlo_f16 v0, v0, v1, 0
	v_mov_b32_e32 v1, s2
	global_store_b16 v1, v0, s[0:1]
.LBB0_7:
	s_nop 0
	s_sendmsg sendmsg(MSG_DEALLOC_VGPRS)
	s_endpgm
	.section	.rodata,"a",@progbits
	.p2align	6, 0x0
	.amdhsa_kernel _Z18LLGemm_Silu_kernelILi2EEvP15HIP_vector_typeIfLj4EEP7__half2PDF16_i
		.amdhsa_group_segment_fixed_size 512
		.amdhsa_private_segment_fixed_size 0
		.amdhsa_kernarg_size 288
		.amdhsa_user_sgpr_count 15
		.amdhsa_user_sgpr_dispatch_ptr 0
		.amdhsa_user_sgpr_queue_ptr 0
		.amdhsa_user_sgpr_kernarg_segment_ptr 1
		.amdhsa_user_sgpr_dispatch_id 0
		.amdhsa_user_sgpr_private_segment_size 0
		.amdhsa_wavefront_size32 1
		.amdhsa_uses_dynamic_stack 0
		.amdhsa_enable_private_segment 0
		.amdhsa_system_sgpr_workgroup_id_x 1
		.amdhsa_system_sgpr_workgroup_id_y 0
		.amdhsa_system_sgpr_workgroup_id_z 0
		.amdhsa_system_sgpr_workgroup_info 0
		.amdhsa_system_vgpr_workitem_id 0
		.amdhsa_next_free_vgpr 14
		.amdhsa_next_free_sgpr 16
		.amdhsa_reserve_vcc 1
		.amdhsa_float_round_mode_32 0
		.amdhsa_float_round_mode_16_64 0
		.amdhsa_float_denorm_mode_32 3
		.amdhsa_float_denorm_mode_16_64 3
		.amdhsa_dx10_clamp 1
		.amdhsa_ieee_mode 1
		.amdhsa_fp16_overflow 0
		.amdhsa_workgroup_processor_mode 1
		.amdhsa_memory_ordered 1
		.amdhsa_forward_progress 0
		.amdhsa_shared_vgpr_count 0
		.amdhsa_exception_fp_ieee_invalid_op 0
		.amdhsa_exception_fp_denorm_src 0
		.amdhsa_exception_fp_ieee_div_zero 0
		.amdhsa_exception_fp_ieee_overflow 0
		.amdhsa_exception_fp_ieee_underflow 0
		.amdhsa_exception_fp_ieee_inexact 0
		.amdhsa_exception_int_div_zero 0
	.end_amdhsa_kernel
	.section	.text._Z18LLGemm_Silu_kernelILi2EEvP15HIP_vector_typeIfLj4EEP7__half2PDF16_i,"axG",@progbits,_Z18LLGemm_Silu_kernelILi2EEvP15HIP_vector_typeIfLj4EEP7__half2PDF16_i,comdat
.Lfunc_end0:
	.size	_Z18LLGemm_Silu_kernelILi2EEvP15HIP_vector_typeIfLj4EEP7__half2PDF16_i, .Lfunc_end0-_Z18LLGemm_Silu_kernelILi2EEvP15HIP_vector_typeIfLj4EEP7__half2PDF16_i
                                        ; -- End function
	.section	.AMDGPU.csdata,"",@progbits
; Kernel info:
; codeLenInByte = 1068
; NumSgprs: 18
; NumVgprs: 14
; ScratchSize: 0
; MemoryBound: 0
; FloatMode: 240
; IeeeMode: 1
; LDSByteSize: 512 bytes/workgroup (compile time only)
; SGPRBlocks: 2
; VGPRBlocks: 1
; NumSGPRsForWavesPerEU: 18
; NumVGPRsForWavesPerEU: 14
; Occupancy: 16
; WaveLimiterHint : 0
; COMPUTE_PGM_RSRC2:SCRATCH_EN: 0
; COMPUTE_PGM_RSRC2:USER_SGPR: 15
; COMPUTE_PGM_RSRC2:TRAP_HANDLER: 0
; COMPUTE_PGM_RSRC2:TGID_X_EN: 1
; COMPUTE_PGM_RSRC2:TGID_Y_EN: 0
; COMPUTE_PGM_RSRC2:TGID_Z_EN: 0
; COMPUTE_PGM_RSRC2:TIDIG_COMP_CNT: 0
	.section	.text._Z18LLGemm_Silu_kernelILi4EEvP15HIP_vector_typeIfLj4EEP7__half2PDF16_i,"axG",@progbits,_Z18LLGemm_Silu_kernelILi4EEvP15HIP_vector_typeIfLj4EEP7__half2PDF16_i,comdat
	.protected	_Z18LLGemm_Silu_kernelILi4EEvP15HIP_vector_typeIfLj4EEP7__half2PDF16_i ; -- Begin function _Z18LLGemm_Silu_kernelILi4EEvP15HIP_vector_typeIfLj4EEP7__half2PDF16_i
	.globl	_Z18LLGemm_Silu_kernelILi4EEvP15HIP_vector_typeIfLj4EEP7__half2PDF16_i
	.p2align	8
	.type	_Z18LLGemm_Silu_kernelILi4EEvP15HIP_vector_typeIfLj4EEP7__half2PDF16_i,@function
_Z18LLGemm_Silu_kernelILi4EEvP15HIP_vector_typeIfLj4EEP7__half2PDF16_i: ; @_Z18LLGemm_Silu_kernelILi4EEvP15HIP_vector_typeIfLj4EEP7__half2PDF16_i
; %bb.0:
	s_clause 0x2
	s_load_b32 s3, s[0:1], 0x2c
	s_load_b32 s8, s[0:1], 0x18
	s_load_b128 s[4:7], s[0:1], 0x0
	s_lshl_b32 s2, s15, 1
	v_mbcnt_lo_u32_b32 v22, -1, 0
	s_and_b32 s2, s2, 0x7ffffffe
	s_waitcnt lgkmcnt(0)
	s_and_b32 s3, s3, 0xffff
	s_add_i32 s8, s2, s8
	v_mad_u64_u32 v[6:7], null, s2, s3, v[0:1]
	v_mov_b32_e32 v7, 0
	v_mad_u64_u32 v[8:9], null, s8, s3, v[0:1]
	v_lshlrev_b32_e32 v1, 4, v0
	s_delay_alu instid0(VALU_DEP_3)
	v_lshlrev_b64 v[10:11], 4, v[6:7]
	v_dual_mov_b32 v9, v7 :: v_dual_add_nc_u32 v6, s3, v6
	global_load_b128 v[2:5], v1, s[6:7]
	v_lshlrev_b64 v[14:15], 4, v[6:7]
	v_add_nc_u32_e32 v6, s3, v8
	v_lshlrev_b64 v[12:13], 4, v[8:9]
	v_add_co_u32 v8, vcc_lo, s4, v10
	v_add_co_ci_u32_e32 v9, vcc_lo, s5, v11, vcc_lo
	s_delay_alu instid0(VALU_DEP_4) | instskip(NEXT) | instid1(VALU_DEP_4)
	v_lshlrev_b64 v[16:17], 4, v[6:7]
	v_add_co_u32 v10, vcc_lo, s4, v12
	v_add_co_ci_u32_e32 v11, vcc_lo, s5, v13, vcc_lo
	v_add_co_u32 v14, vcc_lo, s4, v14
	v_add_co_ci_u32_e32 v15, vcc_lo, s5, v15, vcc_lo
	v_add_co_u32 v18, vcc_lo, s4, v16
	s_clause 0x1
	global_load_b128 v[6:9], v[8:9], off slc dlc
	global_load_b128 v[10:13], v[10:11], off slc dlc
	v_add_co_ci_u32_e32 v19, vcc_lo, s5, v17, vcc_lo
	s_clause 0x1
	global_load_b128 v[14:17], v[14:15], off slc dlc
	global_load_b128 v[18:21], v[18:19], off slc dlc
	s_mov_b32 s4, exec_lo
	s_waitcnt vmcnt(3)
	v_pk_mul_f16 v6, v2, v6
	s_waitcnt vmcnt(2)
	v_pk_mul_f16 v10, v2, v10
	s_delay_alu instid0(VALU_DEP_2) | instskip(SKIP_2) | instid1(VALU_DEP_3)
	v_pk_fma_f16 v6, v7, v3, v6
	s_waitcnt vmcnt(1)
	v_pk_mul_f16 v7, v2, v14
	v_pk_fma_f16 v10, v11, v3, v10
	s_waitcnt vmcnt(0)
	v_pk_mul_f16 v2, v2, v18
	v_or_b32_e32 v14, 32, v22
	v_pk_fma_f16 v6, v8, v4, v6
	v_pk_fma_f16 v7, v15, v3, v7
	s_delay_alu instid0(VALU_DEP_4) | instskip(SKIP_1) | instid1(VALU_DEP_4)
	v_pk_fma_f16 v2, v19, v3, v2
	v_pk_fma_f16 v3, v12, v4, v10
	;; [unrolled: 1-line block ×3, first 2 shown]
	s_delay_alu instid0(VALU_DEP_4)
	v_pk_fma_f16 v7, v16, v4, v7
	v_cmp_gt_i32_e32 vcc_lo, 32, v14
	v_pk_fma_f16 v2, v20, v4, v2
	v_pk_fma_f16 v3, v13, v5, v3
	v_cvt_f32_f16_e32 v4, v6
	v_pk_fma_f16 v7, v17, v5, v7
	v_lshrrev_b32_e32 v6, 16, v6
	v_pk_fma_f16 v2, v21, v5, v2
	v_cvt_f32_f16_e32 v5, v3
	v_lshrrev_b32_e32 v3, 16, v3
	v_cndmask_b32_e32 v8, v22, v14, vcc_lo
	v_lshrrev_b32_e32 v9, 16, v7
	v_cvt_f32_f16_e32 v6, v6
	v_cvt_f32_f16_e32 v7, v7
	v_cvt_f32_f16_e32 v3, v3
	v_lshlrev_b32_e32 v8, 2, v8
	v_cvt_f32_f16_e32 v9, v9
	v_add_f32_e32 v4, v4, v6
	v_lshrrev_b32_e32 v10, 16, v2
	v_add_f32_e32 v3, v5, v3
	v_cvt_f32_f16_e32 v2, v2
	v_add_f32_e32 v5, v7, v9
	ds_bpermute_b32 v7, v8, v4
	v_cvt_f32_f16_e32 v10, v10
	ds_bpermute_b32 v9, v8, v3
	v_xor_b32_e32 v13, 2, v22
	v_add_f32_e32 v6, v2, v10
	ds_bpermute_b32 v10, v8, v5
	v_xor_b32_e32 v2, 16, v22
	s_delay_alu instid0(VALU_DEP_1)
	v_cmp_gt_i32_e32 vcc_lo, 32, v2
	v_cndmask_b32_e32 v2, v22, v2, vcc_lo
	s_waitcnt lgkmcnt(1)
	v_dual_add_f32 v4, v4, v7 :: v_dual_add_f32 v7, v3, v9
	v_xor_b32_e32 v3, 8, v22
	ds_bpermute_b32 v8, v8, v6
	s_waitcnt lgkmcnt(1)
	v_add_f32_e32 v5, v5, v10
	v_cmp_gt_i32_e32 vcc_lo, 32, v3
	v_cndmask_b32_e32 v3, v22, v3, vcc_lo
	s_delay_alu instid0(VALU_DEP_1)
	v_lshlrev_b32_e32 v3, 2, v3
	v_lshlrev_b32_e32 v2, 2, v2
	ds_bpermute_b32 v9, v2, v7
	s_waitcnt lgkmcnt(0)
	v_add_f32_e32 v7, v7, v9
	ds_bpermute_b32 v10, v2, v5
	v_add_f32_e32 v6, v6, v8
	ds_bpermute_b32 v8, v2, v4
	s_waitcnt lgkmcnt(1)
	v_add_f32_e32 v5, v5, v10
	ds_bpermute_b32 v11, v2, v6
	s_waitcnt lgkmcnt(1)
	v_add_f32_e32 v8, v4, v8
	ds_bpermute_b32 v10, v3, v7
	v_xor_b32_e32 v4, 4, v22
	ds_bpermute_b32 v9, v3, v8
	v_cmp_gt_i32_e32 vcc_lo, 32, v4
	s_waitcnt lgkmcnt(2)
	v_add_f32_e32 v6, v6, v11
	ds_bpermute_b32 v11, v3, v5
	s_waitcnt lgkmcnt(2)
	v_dual_add_f32 v7, v7, v10 :: v_dual_cndmask_b32 v4, v22, v4
	v_cmp_gt_i32_e32 vcc_lo, 32, v13
	ds_bpermute_b32 v12, v3, v6
	s_waitcnt lgkmcnt(2)
	v_add_f32_e32 v8, v8, v9
	v_cndmask_b32_e32 v13, v22, v13, vcc_lo
	s_waitcnt lgkmcnt(1)
	v_dual_add_f32 v9, v5, v11 :: v_dual_lshlrev_b32 v4, 2, v4
	s_waitcnt lgkmcnt(0)
	v_add_f32_e32 v6, v6, v12
	ds_bpermute_b32 v10, v4, v7
	ds_bpermute_b32 v11, v4, v9
	s_waitcnt lgkmcnt(1)
	v_add_f32_e32 v7, v7, v10
	ds_bpermute_b32 v5, v4, v8
	s_waitcnt lgkmcnt(1)
	v_add_f32_e32 v10, v9, v11
	v_xor_b32_e32 v9, 1, v22
	s_delay_alu instid0(VALU_DEP_1)
	v_cmp_gt_i32_e32 vcc_lo, 32, v9
	v_cndmask_b32_e32 v15, v22, v9, vcc_lo
	s_waitcnt lgkmcnt(0)
	v_add_f32_e32 v8, v8, v5
	v_lshlrev_b32_e32 v5, 2, v13
	ds_bpermute_b32 v12, v4, v6
	ds_bpermute_b32 v11, v5, v7
	s_waitcnt lgkmcnt(1)
	v_add_f32_e32 v13, v6, v12
	ds_bpermute_b32 v6, v5, v8
	ds_bpermute_b32 v12, v5, v10
	s_waitcnt lgkmcnt(2)
	v_add_f32_e32 v11, v7, v11
	ds_bpermute_b32 v14, v5, v13
	v_and_b32_e32 v7, 63, v0
	s_waitcnt lgkmcnt(2)
	v_dual_add_f32 v9, v8, v6 :: v_dual_lshlrev_b32 v6, 2, v15
	s_waitcnt lgkmcnt(1)
	v_add_f32_e32 v12, v10, v12
	s_waitcnt lgkmcnt(0)
	v_add_f32_e32 v8, v13, v14
	ds_bpermute_b32 v13, v6, v9
	ds_bpermute_b32 v14, v6, v11
	;; [unrolled: 1-line block ×4, first 2 shown]
	v_cmpx_gt_u32_e32 4, v7
	s_cbranch_execz .LBB1_2
; %bb.1:
	s_waitcnt lgkmcnt(1)
	v_dual_add_f32 v9, v9, v13 :: v_dual_add_f32 v12, v12, v15
	v_lshrrev_b32_e32 v13, 4, v0
	v_add_f32_e32 v11, v11, v14
	v_cmp_eq_u32_e32 vcc_lo, 1, v7
	s_waitcnt lgkmcnt(0)
	v_add_f32_e32 v8, v8, v10
	s_delay_alu instid0(VALU_DEP_3) | instskip(SKIP_1) | instid1(VALU_DEP_2)
	v_dual_cndmask_b32 v9, v9, v11 :: v_dual_and_b32 v10, 60, v13
	v_cmp_eq_u32_e32 vcc_lo, 2, v7
	v_lshl_or_b32 v10, v7, 8, v10
	s_delay_alu instid0(VALU_DEP_3) | instskip(SKIP_1) | instid1(VALU_DEP_2)
	v_cndmask_b32_e32 v9, v9, v12, vcc_lo
	v_cmp_eq_u32_e32 vcc_lo, 3, v7
	v_cndmask_b32_e32 v7, v9, v8, vcc_lo
	ds_store_b32 v10, v7
.LBB1_2:
	s_or_b32 exec_lo, exec_lo, s4
	s_waitcnt lgkmcnt(0)
	s_barrier
	buffer_gl0_inv
	s_mov_b32 s4, exec_lo
	v_cmpx_gt_u32_e32 64, v0
	s_cbranch_execz .LBB1_7
; %bb.3:
	v_dual_mov_b32 v7, 0 :: v_dual_and_b32 v8, 15, v0
	s_lshr_b32 s3, s3, 6
	s_delay_alu instid0(VALU_DEP_1) | instid1(SALU_CYCLE_1)
	v_cmp_gt_u32_e32 vcc_lo, s3, v8
	s_and_saveexec_b32 s3, vcc_lo
	s_cbranch_execz .LBB1_5
; %bb.4:
	v_lshlrev_b32_e32 v7, 2, v8
	s_delay_alu instid0(VALU_DEP_1)
	v_and_or_b32 v1, 0x3f00, v1, v7
	ds_load_b32 v7, v1
.LBB1_5:
	s_or_b32 exec_lo, exec_lo, s3
	s_waitcnt lgkmcnt(0)
	ds_bpermute_b32 v1, v3, v7
	s_waitcnt lgkmcnt(0)
	v_add_f32_e32 v1, v7, v1
	ds_bpermute_b32 v3, v4, v1
	s_waitcnt lgkmcnt(0)
	v_add_f32_e32 v1, v1, v3
	;; [unrolled: 3-line block ×4, first 2 shown]
	ds_bpermute_b32 v1, v2, v3
	v_and_b32_e32 v2, 31, v0
	s_delay_alu instid0(VALU_DEP_1)
	v_cmp_eq_u32_e32 vcc_lo, 0, v2
	s_and_b32 exec_lo, exec_lo, vcc_lo
	s_cbranch_execz .LBB1_7
; %bb.6:
	v_mul_f32_e32 v2, 0xbfb8aa3b, v3
	v_cmp_nlt_f32_e32 vcc_lo, 0x42ce8ed0, v3
	s_load_b64 s[0:1], s[0:1], 0x10
	v_lshrrev_b32_e32 v0, 5, v0
	s_delay_alu instid0(VALU_DEP_3) | instskip(SKIP_1) | instid1(VALU_DEP_3)
	v_rndne_f32_e32 v4, v2
	v_fma_f32 v5, 0xbfb8aa3b, v3, -v2
	v_or_b32_e32 v0, s2, v0
	s_delay_alu instid0(VALU_DEP_2) | instskip(SKIP_1) | instid1(VALU_DEP_3)
	v_dual_sub_f32 v2, v2, v4 :: v_dual_fmamk_f32 v5, v3, 0xb2a5705f, v5
	v_cvt_i32_f32_e32 v4, v4
	v_lshlrev_b32_e32 v0, 1, v0
	s_delay_alu instid0(VALU_DEP_3) | instskip(NEXT) | instid1(VALU_DEP_1)
	v_add_f32_e32 v2, v2, v5
	v_exp_f32_e32 v2, v2
	s_waitcnt_depctr 0xfff
	v_ldexp_f32 v2, v2, v4
	s_delay_alu instid0(VALU_DEP_1) | instskip(SKIP_1) | instid1(VALU_DEP_2)
	v_cndmask_b32_e32 v2, 0, v2, vcc_lo
	v_cmp_ngt_f32_e32 vcc_lo, 0xc2b17218, v3
	v_cndmask_b32_e32 v2, 0x7f800000, v2, vcc_lo
	s_delay_alu instid0(VALU_DEP_1) | instskip(NEXT) | instid1(VALU_DEP_1)
	v_add_f32_e32 v2, 1.0, v2
	v_div_scale_f32 v4, null, v2, v2, v3
	v_div_scale_f32 v7, vcc_lo, v3, v2, v3
	s_delay_alu instid0(VALU_DEP_2) | instskip(SKIP_2) | instid1(VALU_DEP_1)
	v_rcp_f32_e32 v5, v4
	s_waitcnt_depctr 0xfff
	v_fma_f32 v6, -v4, v5, 1.0
	v_fmac_f32_e32 v5, v6, v5
	s_delay_alu instid0(VALU_DEP_1) | instskip(NEXT) | instid1(VALU_DEP_1)
	v_mul_f32_e32 v6, v7, v5
	v_fma_f32 v8, -v4, v6, v7
	s_delay_alu instid0(VALU_DEP_1) | instskip(NEXT) | instid1(VALU_DEP_1)
	v_fmac_f32_e32 v6, v8, v5
	v_fma_f32 v4, -v4, v6, v7
	s_delay_alu instid0(VALU_DEP_1) | instskip(NEXT) | instid1(VALU_DEP_1)
	v_div_fmas_f32 v4, v4, v5, v6
	v_div_fixup_f32 v2, v4, v2, v3
	s_waitcnt lgkmcnt(0)
	s_delay_alu instid0(VALU_DEP_1)
	v_fma_mixlo_f16 v1, v2, v1, 0
	global_store_b16 v0, v1, s[0:1]
.LBB1_7:
	s_nop 0
	s_sendmsg sendmsg(MSG_DEALLOC_VGPRS)
	s_endpgm
	.section	.rodata,"a",@progbits
	.p2align	6, 0x0
	.amdhsa_kernel _Z18LLGemm_Silu_kernelILi4EEvP15HIP_vector_typeIfLj4EEP7__half2PDF16_i
		.amdhsa_group_segment_fixed_size 1024
		.amdhsa_private_segment_fixed_size 0
		.amdhsa_kernarg_size 288
		.amdhsa_user_sgpr_count 15
		.amdhsa_user_sgpr_dispatch_ptr 0
		.amdhsa_user_sgpr_queue_ptr 0
		.amdhsa_user_sgpr_kernarg_segment_ptr 1
		.amdhsa_user_sgpr_dispatch_id 0
		.amdhsa_user_sgpr_private_segment_size 0
		.amdhsa_wavefront_size32 1
		.amdhsa_uses_dynamic_stack 0
		.amdhsa_enable_private_segment 0
		.amdhsa_system_sgpr_workgroup_id_x 1
		.amdhsa_system_sgpr_workgroup_id_y 0
		.amdhsa_system_sgpr_workgroup_id_z 0
		.amdhsa_system_sgpr_workgroup_info 0
		.amdhsa_system_vgpr_workitem_id 0
		.amdhsa_next_free_vgpr 23
		.amdhsa_next_free_sgpr 16
		.amdhsa_reserve_vcc 1
		.amdhsa_float_round_mode_32 0
		.amdhsa_float_round_mode_16_64 0
		.amdhsa_float_denorm_mode_32 3
		.amdhsa_float_denorm_mode_16_64 3
		.amdhsa_dx10_clamp 1
		.amdhsa_ieee_mode 1
		.amdhsa_fp16_overflow 0
		.amdhsa_workgroup_processor_mode 1
		.amdhsa_memory_ordered 1
		.amdhsa_forward_progress 0
		.amdhsa_shared_vgpr_count 0
		.amdhsa_exception_fp_ieee_invalid_op 0
		.amdhsa_exception_fp_denorm_src 0
		.amdhsa_exception_fp_ieee_div_zero 0
		.amdhsa_exception_fp_ieee_overflow 0
		.amdhsa_exception_fp_ieee_underflow 0
		.amdhsa_exception_fp_ieee_inexact 0
		.amdhsa_exception_int_div_zero 0
	.end_amdhsa_kernel
	.section	.text._Z18LLGemm_Silu_kernelILi4EEvP15HIP_vector_typeIfLj4EEP7__half2PDF16_i,"axG",@progbits,_Z18LLGemm_Silu_kernelILi4EEvP15HIP_vector_typeIfLj4EEP7__half2PDF16_i,comdat
.Lfunc_end1:
	.size	_Z18LLGemm_Silu_kernelILi4EEvP15HIP_vector_typeIfLj4EEP7__half2PDF16_i, .Lfunc_end1-_Z18LLGemm_Silu_kernelILi4EEvP15HIP_vector_typeIfLj4EEP7__half2PDF16_i
                                        ; -- End function
	.section	.AMDGPU.csdata,"",@progbits
; Kernel info:
; codeLenInByte = 1452
; NumSgprs: 18
; NumVgprs: 23
; ScratchSize: 0
; MemoryBound: 0
; FloatMode: 240
; IeeeMode: 1
; LDSByteSize: 1024 bytes/workgroup (compile time only)
; SGPRBlocks: 2
; VGPRBlocks: 2
; NumSGPRsForWavesPerEU: 18
; NumVGPRsForWavesPerEU: 23
; Occupancy: 16
; WaveLimiterHint : 0
; COMPUTE_PGM_RSRC2:SCRATCH_EN: 0
; COMPUTE_PGM_RSRC2:USER_SGPR: 15
; COMPUTE_PGM_RSRC2:TRAP_HANDLER: 0
; COMPUTE_PGM_RSRC2:TGID_X_EN: 1
; COMPUTE_PGM_RSRC2:TGID_Y_EN: 0
; COMPUTE_PGM_RSRC2:TGID_Z_EN: 0
; COMPUTE_PGM_RSRC2:TIDIG_COMP_CNT: 0
	.section	.text._Z18LLGemm_Silu_kernelILi8EEvP15HIP_vector_typeIfLj4EEP7__half2PDF16_i,"axG",@progbits,_Z18LLGemm_Silu_kernelILi8EEvP15HIP_vector_typeIfLj4EEP7__half2PDF16_i,comdat
	.protected	_Z18LLGemm_Silu_kernelILi8EEvP15HIP_vector_typeIfLj4EEP7__half2PDF16_i ; -- Begin function _Z18LLGemm_Silu_kernelILi8EEvP15HIP_vector_typeIfLj4EEP7__half2PDF16_i
	.globl	_Z18LLGemm_Silu_kernelILi8EEvP15HIP_vector_typeIfLj4EEP7__half2PDF16_i
	.p2align	8
	.type	_Z18LLGemm_Silu_kernelILi8EEvP15HIP_vector_typeIfLj4EEP7__half2PDF16_i,@function
_Z18LLGemm_Silu_kernelILi8EEvP15HIP_vector_typeIfLj4EEP7__half2PDF16_i: ; @_Z18LLGemm_Silu_kernelILi8EEvP15HIP_vector_typeIfLj4EEP7__half2PDF16_i
; %bb.0:
	s_clause 0x1
	s_load_b32 s3, s[0:1], 0x2c
	s_load_b32 s8, s[0:1], 0x18
	s_lshl_b32 s2, s15, 2
	s_load_b128 s[4:7], s[0:1], 0x0
	s_and_b32 s2, s2, 0x7ffffffc
	v_mbcnt_lo_u32_b32 v38, -1, 0
	s_delay_alu instid0(VALU_DEP_1)
	v_or_b32_e32 v39, 32, v38
	v_xor_b32_e32 v40, 16, v38
	s_waitcnt lgkmcnt(0)
	s_and_b32 s3, s3, 0xffff
	s_add_i32 s8, s2, s8
	v_mad_u64_u32 v[30:31], null, s2, s3, v[0:1]
	v_mov_b32_e32 v31, 0
	v_mad_u64_u32 v[2:3], null, s8, s3, v[0:1]
	v_lshlrev_b32_e32 v1, 4, v0
	s_delay_alu instid0(VALU_DEP_3) | instskip(SKIP_1) | instid1(VALU_DEP_4)
	v_lshlrev_b64 v[6:7], 4, v[30:31]
	v_dual_mov_b32 v3, v31 :: v_dual_add_nc_u32 v30, s3, v30
	v_dual_mov_b32 v5, v31 :: v_dual_add_nc_u32 v4, s3, v2
	v_mov_b32_e32 v33, v31
	s_delay_alu instid0(VALU_DEP_3) | instskip(NEXT) | instid1(VALU_DEP_4)
	v_lshlrev_b64 v[8:9], 4, v[30:31]
	v_lshlrev_b64 v[2:3], 4, v[2:3]
	s_delay_alu instid0(VALU_DEP_4)
	v_add_nc_u32_e32 v32, s3, v4
	v_add_nc_u32_e32 v30, s3, v30
	v_lshlrev_b64 v[10:11], 4, v[4:5]
	v_add_co_u32 v4, vcc_lo, s4, v6
	v_add_co_ci_u32_e32 v5, vcc_lo, s5, v7, vcc_lo
	v_add_co_u32 v6, vcc_lo, s4, v2
	v_add_co_ci_u32_e32 v7, vcc_lo, s5, v3, vcc_lo
	v_lshlrev_b64 v[12:13], 4, v[30:31]
	v_add_co_u32 v16, vcc_lo, s4, v8
	v_add_co_ci_u32_e32 v17, vcc_lo, s5, v9, vcc_lo
	v_add_co_u32 v18, vcc_lo, s4, v10
	v_add_co_ci_u32_e32 v19, vcc_lo, s5, v11, vcc_lo
	v_add_co_u32 v22, vcc_lo, s4, v12
	s_clause 0x1
	global_load_b128 v[2:5], v[4:5], off slc dlc
	global_load_b128 v[6:9], v[6:7], off slc dlc
	v_add_co_ci_u32_e32 v23, vcc_lo, s5, v13, vcc_lo
	global_load_b128 v[10:13], v1, s[6:7]
	v_lshlrev_b64 v[14:15], 4, v[32:33]
	v_add_nc_u32_e32 v30, s3, v30
	s_delay_alu instid0(VALU_DEP_2) | instskip(NEXT) | instid1(VALU_DEP_2)
	v_add_co_u32 v26, vcc_lo, s4, v14
	v_lshlrev_b64 v[33:34], 4, v[30:31]
	s_delay_alu instid0(VALU_DEP_4)
	v_add_co_ci_u32_e32 v27, vcc_lo, s5, v15, vcc_lo
	s_clause 0x3
	global_load_b128 v[14:17], v[16:17], off slc dlc
	global_load_b128 v[18:21], v[18:19], off slc dlc
	global_load_b128 v[22:25], v[22:23], off slc dlc
	global_load_b128 v[26:29], v[26:27], off slc dlc
	s_waitcnt vmcnt(4)
	v_pk_mul_f16 v2, v10, v2
	v_pk_mul_f16 v6, v10, v6
	s_delay_alu instid0(VALU_DEP_2) | instskip(NEXT) | instid1(VALU_DEP_2)
	v_pk_fma_f16 v2, v3, v11, v2
	v_pk_fma_f16 v6, v7, v11, v6
	s_delay_alu instid0(VALU_DEP_2) | instskip(NEXT) | instid1(VALU_DEP_2)
	v_pk_fma_f16 v2, v4, v12, v2
	v_pk_fma_f16 v6, v8, v12, v6
	s_waitcnt vmcnt(3)
	v_pk_mul_f16 v3, v10, v14
	s_waitcnt vmcnt(2)
	v_pk_mul_f16 v14, v10, v18
	;; [unrolled: 2-line block ×3, first 2 shown]
	v_pk_fma_f16 v2, v5, v13, v2
	v_pk_fma_f16 v6, v9, v13, v6
	;; [unrolled: 1-line block ×4, first 2 shown]
	s_waitcnt vmcnt(0)
	v_pk_mul_f16 v14, v10, v26
	v_cvt_f32_f16_e32 v9, v2
	v_lshrrev_b32_e32 v2, 16, v2
	v_pk_fma_f16 v3, v16, v12, v3
	v_pk_fma_f16 v4, v20, v12, v4
	;; [unrolled: 1-line block ×4, first 2 shown]
	v_cvt_f32_f16_e32 v2, v2
	v_add_nc_u32_e32 v30, s3, v32
	v_add_co_u32 v32, vcc_lo, s4, v33
	v_add_co_ci_u32_e32 v33, vcc_lo, s5, v34, vcc_lo
	s_delay_alu instid0(VALU_DEP_4) | instskip(NEXT) | instid1(VALU_DEP_4)
	v_add_f32_e32 v9, v9, v2
	v_lshlrev_b64 v[34:35], 4, v[30:31]
	v_pk_fma_f16 v3, v17, v13, v3
	global_load_b128 v[30:33], v[32:33], off slc dlc
	v_pk_fma_f16 v4, v21, v13, v4
	v_pk_fma_f16 v5, v24, v12, v5
	;; [unrolled: 1-line block ×3, first 2 shown]
	v_add_co_u32 v34, vcc_lo, s4, v34
	v_add_co_ci_u32_e32 v35, vcc_lo, s5, v35, vcc_lo
	v_cmp_gt_i32_e32 vcc_lo, 32, v39
	v_cvt_f32_f16_e32 v15, v3
	v_lshrrev_b32_e32 v3, 16, v3
	global_load_b128 v[34:37], v[34:35], off slc dlc
	v_cvt_f32_f16_e32 v16, v4
	v_lshrrev_b32_e32 v4, 16, v4
	v_pk_fma_f16 v5, v25, v13, v5
	v_pk_fma_f16 v7, v29, v13, v7
	v_cndmask_b32_e32 v39, v38, v39, vcc_lo
	v_cvt_f32_f16_e32 v2, v3
	v_cvt_f32_f16_e32 v3, v4
	;; [unrolled: 1-line block ×3, first 2 shown]
	v_lshrrev_b32_e32 v5, 16, v5
	v_cvt_f32_f16_e32 v14, v6
	v_lshrrev_b32_e32 v6, 16, v6
	v_cmp_gt_i32_e32 vcc_lo, 32, v40
	s_mov_b32 s4, exec_lo
	v_add_f32_e32 v3, v16, v3
	s_delay_alu instid0(VALU_DEP_3) | instskip(NEXT) | instid1(VALU_DEP_1)
	v_cvt_f32_f16_e32 v6, v6
	v_add_f32_e32 v6, v14, v6
	s_waitcnt vmcnt(1)
	v_pk_mul_f16 v8, v10, v30
	s_delay_alu instid0(VALU_DEP_1) | instskip(NEXT) | instid1(VALU_DEP_1)
	v_pk_fma_f16 v8, v31, v11, v8
	v_pk_fma_f16 v8, v32, v12, v8
	s_waitcnt vmcnt(0)
	v_pk_mul_f16 v10, v10, v34
	s_delay_alu instid0(VALU_DEP_2) | instskip(NEXT) | instid1(VALU_DEP_2)
	v_pk_fma_f16 v8, v33, v13, v8
	v_pk_fma_f16 v10, v35, v11, v10
	v_cvt_f32_f16_e32 v11, v7
	v_lshrrev_b32_e32 v7, 16, v7
	s_delay_alu instid0(VALU_DEP_3) | instskip(SKIP_2) | instid1(VALU_DEP_4)
	v_pk_fma_f16 v10, v36, v12, v10
	v_add_f32_e32 v12, v15, v2
	v_cvt_f32_f16_e32 v2, v5
	v_cvt_f32_f16_e32 v5, v7
	v_lshlrev_b32_e32 v18, 2, v39
	v_pk_fma_f16 v7, v37, v13, v10
	v_cvt_f32_f16_e32 v10, v8
	v_lshrrev_b32_e32 v8, 16, v8
	v_add_f32_e32 v5, v11, v5
	ds_bpermute_b32 v13, v18, v9
	v_lshrrev_b32_e32 v15, 16, v7
	v_cvt_f32_f16_e32 v7, v7
	v_add_f32_e32 v4, v4, v2
	v_cvt_f32_f16_e32 v2, v8
	ds_bpermute_b32 v11, v18, v12
	v_cvt_f32_f16_e32 v8, v15
	ds_bpermute_b32 v14, v18, v6
	ds_bpermute_b32 v15, v18, v3
	v_add_f32_e32 v10, v10, v2
	v_cndmask_b32_e32 v2, v38, v40, vcc_lo
	v_add_f32_e32 v7, v7, v8
	ds_bpermute_b32 v16, v18, v4
	ds_bpermute_b32 v8, v18, v5
	s_waitcnt lgkmcnt(5)
	v_add_f32_e32 v9, v9, v13
	ds_bpermute_b32 v17, v18, v10
	ds_bpermute_b32 v18, v18, v7
	v_xor_b32_e32 v13, 8, v38
	s_waitcnt lgkmcnt(6)
	v_dual_add_f32 v11, v12, v11 :: v_dual_lshlrev_b32 v2, 2, v2
	s_delay_alu instid0(VALU_DEP_2)
	v_cmp_gt_i32_e32 vcc_lo, 32, v13
	s_waitcnt lgkmcnt(4)
	v_add_f32_e32 v12, v3, v15
	s_waitcnt lgkmcnt(3)
	v_add_f32_e32 v4, v4, v16
	;; [unrolled: 2-line block ×3, first 2 shown]
	ds_bpermute_b32 v8, v2, v11
	v_cndmask_b32_e32 v3, v38, v13, vcc_lo
	v_add_f32_e32 v6, v6, v14
	ds_bpermute_b32 v14, v2, v9
	ds_bpermute_b32 v16, v2, v12
	v_xor_b32_e32 v13, 4, v38
	v_lshlrev_b32_e32 v3, 2, v3
	ds_bpermute_b32 v15, v2, v6
	s_waitcnt lgkmcnt(4)
	v_dual_add_f32 v10, v10, v17 :: v_dual_add_f32 v7, v7, v18
	ds_bpermute_b32 v17, v2, v4
	ds_bpermute_b32 v18, v2, v5
	v_cmp_gt_i32_e32 vcc_lo, 32, v13
	ds_bpermute_b32 v20, v2, v7
	s_waitcnt lgkmcnt(5)
	v_dual_add_f32 v8, v11, v8 :: v_dual_add_f32 v9, v9, v14
	ds_bpermute_b32 v19, v2, v10
	s_waitcnt lgkmcnt(4)
	v_dual_add_f32 v11, v12, v16 :: v_dual_add_f32 v6, v6, v15
	ds_bpermute_b32 v12, v3, v9
	s_waitcnt lgkmcnt(4)
	v_add_f32_e32 v15, v4, v17
	ds_bpermute_b32 v16, v3, v8
	s_waitcnt lgkmcnt(4)
	v_add_f32_e32 v5, v5, v18
	ds_bpermute_b32 v17, v3, v11
	ds_bpermute_b32 v14, v3, v6
	;; [unrolled: 1-line block ×3, first 2 shown]
	s_waitcnt lgkmcnt(6)
	v_dual_add_f32 v7, v7, v20 :: v_dual_cndmask_b32 v4, v38, v13
	ds_bpermute_b32 v21, v3, v7
	v_lshlrev_b32_e32 v4, 2, v4
	s_waitcnt lgkmcnt(6)
	v_add_f32_e32 v10, v10, v19
	ds_bpermute_b32 v19, v3, v5
	s_waitcnt lgkmcnt(6)
	v_add_f32_e32 v9, v9, v12
	ds_bpermute_b32 v20, v3, v10
	v_xor_b32_e32 v12, 2, v38
	s_waitcnt lgkmcnt(5)
	v_dual_add_f32 v8, v8, v16 :: v_dual_add_f32 v11, v11, v17
	s_waitcnt lgkmcnt(4)
	v_add_f32_e32 v6, v6, v14
	s_waitcnt lgkmcnt(3)
	v_add_f32_e32 v15, v15, v18
	ds_bpermute_b32 v17, v4, v8
	ds_bpermute_b32 v13, v4, v9
	v_cmp_gt_i32_e32 vcc_lo, 32, v12
	ds_bpermute_b32 v14, v4, v6
	ds_bpermute_b32 v18, v4, v11
	s_waitcnt lgkmcnt(5)
	v_dual_add_f32 v7, v7, v21 :: v_dual_add_f32 v16, v5, v19
	v_cndmask_b32_e32 v5, v38, v12, vcc_lo
	ds_bpermute_b32 v19, v4, v15
	ds_bpermute_b32 v22, v4, v7
	s_waitcnt lgkmcnt(5)
	v_add_f32_e32 v8, v8, v17
	v_dual_add_f32 v10, v10, v20 :: v_dual_lshlrev_b32 v5, 2, v5
	ds_bpermute_b32 v20, v4, v16
	s_waitcnt lgkmcnt(4)
	v_dual_add_f32 v9, v9, v13 :: v_dual_add_f32 v12, v6, v14
	ds_bpermute_b32 v21, v4, v10
	s_waitcnt lgkmcnt(4)
	v_add_f32_e32 v11, v11, v18
	ds_bpermute_b32 v17, v5, v8
	ds_bpermute_b32 v13, v5, v9
	;; [unrolled: 1-line block ×3, first 2 shown]
	s_waitcnt lgkmcnt(6)
	v_add_f32_e32 v15, v15, v19
	s_waitcnt lgkmcnt(5)
	v_add_f32_e32 v7, v7, v22
	v_xor_b32_e32 v6, 1, v38
	s_delay_alu instid0(VALU_DEP_1)
	v_cmp_gt_i32_e32 vcc_lo, 32, v6
	s_waitcnt lgkmcnt(4)
	v_add_f32_e32 v16, v16, v20
	ds_bpermute_b32 v23, v5, v11
	s_waitcnt lgkmcnt(4)
	v_add_f32_e32 v24, v10, v21
	ds_bpermute_b32 v10, v5, v15
	ds_bpermute_b32 v25, v5, v16
	s_waitcnt lgkmcnt(4)
	v_add_f32_e32 v18, v9, v13
	ds_bpermute_b32 v27, v5, v7
	ds_bpermute_b32 v26, v5, v24
	v_cndmask_b32_e32 v6, v38, v6, vcc_lo
	s_waitcnt lgkmcnt(5)
	v_add_f32_e32 v19, v12, v14
	v_add_f32_e32 v20, v8, v17
	v_and_b32_e32 v8, 63, v0
	s_waitcnt lgkmcnt(4)
	v_add_f32_e32 v12, v11, v23
	s_waitcnt lgkmcnt(2)
	v_dual_add_f32 v13, v15, v10 :: v_dual_add_f32 v10, v16, v25
	s_waitcnt lgkmcnt(1)
	v_dual_add_f32 v7, v7, v27 :: v_dual_lshlrev_b32 v6, 2, v6
	s_waitcnt lgkmcnt(0)
	v_add_f32_e32 v9, v24, v26
	ds_bpermute_b32 v21, v6, v18
	ds_bpermute_b32 v22, v6, v19
	;; [unrolled: 1-line block ×8, first 2 shown]
	v_cmpx_gt_u32_e32 8, v8
	s_cbranch_execz .LBB2_2
; %bb.1:
	s_waitcnt lgkmcnt(6)
	v_dual_add_f32 v18, v18, v21 :: v_dual_add_f32 v19, v19, v22
	v_cmp_eq_u32_e32 vcc_lo, 1, v8
	s_waitcnt lgkmcnt(3)
	v_dual_add_f32 v20, v20, v23 :: v_dual_add_f32 v13, v13, v16
	s_waitcnt lgkmcnt(1)
	v_add_f32_e32 v9, v9, v14
	s_waitcnt lgkmcnt(0)
	v_add_f32_e32 v7, v7, v11
	v_cndmask_b32_e32 v18, v18, v19, vcc_lo
	v_cmp_eq_u32_e32 vcc_lo, 2, v8
	s_delay_alu instid0(VALU_DEP_2) | instskip(SKIP_1) | instid1(VALU_DEP_2)
	v_dual_add_f32 v12, v12, v17 :: v_dual_cndmask_b32 v17, v18, v20
	v_cmp_eq_u32_e32 vcc_lo, 3, v8
	v_cndmask_b32_e32 v12, v17, v12, vcc_lo
	v_cmp_eq_u32_e32 vcc_lo, 4, v8
	s_delay_alu instid0(VALU_DEP_2) | instskip(SKIP_3) | instid1(VALU_DEP_2)
	v_cndmask_b32_e32 v12, v12, v13, vcc_lo
	v_lshrrev_b32_e32 v13, 4, v0
	v_add_f32_e32 v10, v10, v15
	v_cmp_eq_u32_e32 vcc_lo, 5, v8
	v_dual_cndmask_b32 v10, v12, v10 :: v_dual_and_b32 v11, 60, v13
	v_cmp_eq_u32_e32 vcc_lo, 6, v8
	s_delay_alu instid0(VALU_DEP_2) | instskip(SKIP_1) | instid1(VALU_DEP_4)
	v_cndmask_b32_e32 v9, v10, v9, vcc_lo
	v_cmp_eq_u32_e32 vcc_lo, 7, v8
	v_lshl_or_b32 v10, v8, 8, v11
	s_delay_alu instid0(VALU_DEP_3)
	v_cndmask_b32_e32 v7, v9, v7, vcc_lo
	ds_store_b32 v10, v7
.LBB2_2:
	s_or_b32 exec_lo, exec_lo, s4
	s_waitcnt lgkmcnt(0)
	s_barrier
	buffer_gl0_inv
	s_mov_b32 s4, exec_lo
	v_cmpx_gt_u32_e32 0x80, v0
	s_cbranch_execz .LBB2_7
; %bb.3:
	v_dual_mov_b32 v7, 0 :: v_dual_and_b32 v8, 15, v0
	s_lshr_b32 s3, s3, 6
	s_delay_alu instid0(VALU_DEP_1) | instid1(SALU_CYCLE_1)
	v_cmp_gt_u32_e32 vcc_lo, s3, v8
	s_and_saveexec_b32 s3, vcc_lo
	s_cbranch_execz .LBB2_5
; %bb.4:
	v_lshlrev_b32_e32 v7, 2, v8
	s_delay_alu instid0(VALU_DEP_1)
	v_and_or_b32 v1, 0x3f00, v1, v7
	ds_load_b32 v7, v1
.LBB2_5:
	s_or_b32 exec_lo, exec_lo, s3
	s_waitcnt lgkmcnt(0)
	ds_bpermute_b32 v1, v3, v7
	s_waitcnt lgkmcnt(0)
	v_add_f32_e32 v1, v7, v1
	ds_bpermute_b32 v3, v4, v1
	s_waitcnt lgkmcnt(0)
	v_add_f32_e32 v1, v1, v3
	;; [unrolled: 3-line block ×4, first 2 shown]
	ds_bpermute_b32 v1, v2, v3
	v_and_b32_e32 v2, 31, v0
	s_delay_alu instid0(VALU_DEP_1)
	v_cmp_eq_u32_e32 vcc_lo, 0, v2
	s_and_b32 exec_lo, exec_lo, vcc_lo
	s_cbranch_execz .LBB2_7
; %bb.6:
	v_mul_f32_e32 v2, 0xbfb8aa3b, v3
	v_cmp_nlt_f32_e32 vcc_lo, 0x42ce8ed0, v3
	s_load_b64 s[0:1], s[0:1], 0x10
	v_lshrrev_b32_e32 v0, 5, v0
	s_delay_alu instid0(VALU_DEP_3) | instskip(SKIP_1) | instid1(VALU_DEP_3)
	v_rndne_f32_e32 v4, v2
	v_fma_f32 v5, 0xbfb8aa3b, v3, -v2
	v_or_b32_e32 v0, s2, v0
	s_delay_alu instid0(VALU_DEP_2) | instskip(SKIP_1) | instid1(VALU_DEP_3)
	v_dual_sub_f32 v2, v2, v4 :: v_dual_fmamk_f32 v5, v3, 0xb2a5705f, v5
	v_cvt_i32_f32_e32 v4, v4
	v_lshlrev_b32_e32 v0, 1, v0
	s_delay_alu instid0(VALU_DEP_3) | instskip(NEXT) | instid1(VALU_DEP_1)
	v_add_f32_e32 v2, v2, v5
	v_exp_f32_e32 v2, v2
	s_waitcnt_depctr 0xfff
	v_ldexp_f32 v2, v2, v4
	s_delay_alu instid0(VALU_DEP_1) | instskip(SKIP_1) | instid1(VALU_DEP_2)
	v_cndmask_b32_e32 v2, 0, v2, vcc_lo
	v_cmp_ngt_f32_e32 vcc_lo, 0xc2b17218, v3
	v_cndmask_b32_e32 v2, 0x7f800000, v2, vcc_lo
	s_delay_alu instid0(VALU_DEP_1) | instskip(NEXT) | instid1(VALU_DEP_1)
	v_add_f32_e32 v2, 1.0, v2
	v_div_scale_f32 v4, null, v2, v2, v3
	v_div_scale_f32 v7, vcc_lo, v3, v2, v3
	s_delay_alu instid0(VALU_DEP_2) | instskip(SKIP_2) | instid1(VALU_DEP_1)
	v_rcp_f32_e32 v5, v4
	s_waitcnt_depctr 0xfff
	v_fma_f32 v6, -v4, v5, 1.0
	v_fmac_f32_e32 v5, v6, v5
	s_delay_alu instid0(VALU_DEP_1) | instskip(NEXT) | instid1(VALU_DEP_1)
	v_mul_f32_e32 v6, v7, v5
	v_fma_f32 v8, -v4, v6, v7
	s_delay_alu instid0(VALU_DEP_1) | instskip(NEXT) | instid1(VALU_DEP_1)
	v_fmac_f32_e32 v6, v8, v5
	v_fma_f32 v4, -v4, v6, v7
	s_delay_alu instid0(VALU_DEP_1) | instskip(NEXT) | instid1(VALU_DEP_1)
	v_div_fmas_f32 v4, v4, v5, v6
	v_div_fixup_f32 v2, v4, v2, v3
	s_waitcnt lgkmcnt(0)
	s_delay_alu instid0(VALU_DEP_1)
	v_fma_mixlo_f16 v1, v2, v1, 0
	global_store_b16 v0, v1, s[0:1]
.LBB2_7:
	s_nop 0
	s_sendmsg sendmsg(MSG_DEALLOC_VGPRS)
	s_endpgm
	.section	.rodata,"a",@progbits
	.p2align	6, 0x0
	.amdhsa_kernel _Z18LLGemm_Silu_kernelILi8EEvP15HIP_vector_typeIfLj4EEP7__half2PDF16_i
		.amdhsa_group_segment_fixed_size 2048
		.amdhsa_private_segment_fixed_size 0
		.amdhsa_kernarg_size 288
		.amdhsa_user_sgpr_count 15
		.amdhsa_user_sgpr_dispatch_ptr 0
		.amdhsa_user_sgpr_queue_ptr 0
		.amdhsa_user_sgpr_kernarg_segment_ptr 1
		.amdhsa_user_sgpr_dispatch_id 0
		.amdhsa_user_sgpr_private_segment_size 0
		.amdhsa_wavefront_size32 1
		.amdhsa_uses_dynamic_stack 0
		.amdhsa_enable_private_segment 0
		.amdhsa_system_sgpr_workgroup_id_x 1
		.amdhsa_system_sgpr_workgroup_id_y 0
		.amdhsa_system_sgpr_workgroup_id_z 0
		.amdhsa_system_sgpr_workgroup_info 0
		.amdhsa_system_vgpr_workitem_id 0
		.amdhsa_next_free_vgpr 41
		.amdhsa_next_free_sgpr 16
		.amdhsa_reserve_vcc 1
		.amdhsa_float_round_mode_32 0
		.amdhsa_float_round_mode_16_64 0
		.amdhsa_float_denorm_mode_32 3
		.amdhsa_float_denorm_mode_16_64 3
		.amdhsa_dx10_clamp 1
		.amdhsa_ieee_mode 1
		.amdhsa_fp16_overflow 0
		.amdhsa_workgroup_processor_mode 1
		.amdhsa_memory_ordered 1
		.amdhsa_forward_progress 0
		.amdhsa_shared_vgpr_count 0
		.amdhsa_exception_fp_ieee_invalid_op 0
		.amdhsa_exception_fp_denorm_src 0
		.amdhsa_exception_fp_ieee_div_zero 0
		.amdhsa_exception_fp_ieee_overflow 0
		.amdhsa_exception_fp_ieee_underflow 0
		.amdhsa_exception_fp_ieee_inexact 0
		.amdhsa_exception_int_div_zero 0
	.end_amdhsa_kernel
	.section	.text._Z18LLGemm_Silu_kernelILi8EEvP15HIP_vector_typeIfLj4EEP7__half2PDF16_i,"axG",@progbits,_Z18LLGemm_Silu_kernelILi8EEvP15HIP_vector_typeIfLj4EEP7__half2PDF16_i,comdat
.Lfunc_end2:
	.size	_Z18LLGemm_Silu_kernelILi8EEvP15HIP_vector_typeIfLj4EEP7__half2PDF16_i, .Lfunc_end2-_Z18LLGemm_Silu_kernelILi8EEvP15HIP_vector_typeIfLj4EEP7__half2PDF16_i
                                        ; -- End function
	.section	.AMDGPU.csdata,"",@progbits
; Kernel info:
; codeLenInByte = 2208
; NumSgprs: 18
; NumVgprs: 41
; ScratchSize: 0
; MemoryBound: 0
; FloatMode: 240
; IeeeMode: 1
; LDSByteSize: 2048 bytes/workgroup (compile time only)
; SGPRBlocks: 2
; VGPRBlocks: 5
; NumSGPRsForWavesPerEU: 18
; NumVGPRsForWavesPerEU: 41
; Occupancy: 16
; WaveLimiterHint : 0
; COMPUTE_PGM_RSRC2:SCRATCH_EN: 0
; COMPUTE_PGM_RSRC2:USER_SGPR: 15
; COMPUTE_PGM_RSRC2:TRAP_HANDLER: 0
; COMPUTE_PGM_RSRC2:TGID_X_EN: 1
; COMPUTE_PGM_RSRC2:TGID_Y_EN: 0
; COMPUTE_PGM_RSRC2:TGID_Z_EN: 0
; COMPUTE_PGM_RSRC2:TIDIG_COMP_CNT: 0
	.section	.text._Z18LLGemm_Silu_kernelILi16EEvP15HIP_vector_typeIfLj4EEP7__half2PDF16_i,"axG",@progbits,_Z18LLGemm_Silu_kernelILi16EEvP15HIP_vector_typeIfLj4EEP7__half2PDF16_i,comdat
	.protected	_Z18LLGemm_Silu_kernelILi16EEvP15HIP_vector_typeIfLj4EEP7__half2PDF16_i ; -- Begin function _Z18LLGemm_Silu_kernelILi16EEvP15HIP_vector_typeIfLj4EEP7__half2PDF16_i
	.globl	_Z18LLGemm_Silu_kernelILi16EEvP15HIP_vector_typeIfLj4EEP7__half2PDF16_i
	.p2align	8
	.type	_Z18LLGemm_Silu_kernelILi16EEvP15HIP_vector_typeIfLj4EEP7__half2PDF16_i,@function
_Z18LLGemm_Silu_kernelILi16EEvP15HIP_vector_typeIfLj4EEP7__half2PDF16_i: ; @_Z18LLGemm_Silu_kernelILi16EEvP15HIP_vector_typeIfLj4EEP7__half2PDF16_i
; %bb.0:
	s_clause 0x1
	s_load_b32 s3, s[0:1], 0x2c
	s_load_b32 s8, s[0:1], 0x18
	s_lshl_b32 s2, s15, 3
	s_load_b128 s[4:7], s[0:1], 0x0
	s_and_b32 s2, s2, 0x7ffffff8
	v_lshlrev_b32_e32 v69, 4, v0
	s_waitcnt lgkmcnt(0)
	s_and_b32 s3, s3, 0xffff
	s_add_i32 s8, s2, s8
	v_mad_u64_u32 v[21:22], null, s2, s3, v[0:1]
	v_mov_b32_e32 v22, 0
	v_mad_u64_u32 v[1:2], null, s8, s3, v[0:1]
	s_delay_alu instid0(VALU_DEP_2) | instskip(SKIP_1) | instid1(VALU_DEP_3)
	v_lshlrev_b64 v[5:6], 4, v[21:22]
	v_dual_mov_b32 v2, v22 :: v_dual_add_nc_u32 v21, s3, v21
	v_dual_mov_b32 v4, v22 :: v_dual_add_nc_u32 v3, s3, v1
	v_mov_b32_e32 v10, v22
	s_delay_alu instid0(VALU_DEP_3) | instskip(NEXT) | instid1(VALU_DEP_4)
	v_lshlrev_b64 v[7:8], 4, v[21:22]
	v_lshlrev_b64 v[1:2], 4, v[1:2]
	s_delay_alu instid0(VALU_DEP_4)
	v_add_nc_u32_e32 v9, s3, v3
	v_add_nc_u32_e32 v21, s3, v21
	v_lshlrev_b64 v[11:12], 4, v[3:4]
	v_add_co_u32 v3, vcc_lo, s4, v5
	v_add_co_ci_u32_e32 v4, vcc_lo, s5, v6, vcc_lo
	v_add_co_u32 v1, vcc_lo, s4, v1
	v_add_co_ci_u32_e32 v2, vcc_lo, s5, v2, vcc_lo
	v_lshlrev_b64 v[23:24], 4, v[21:22]
	v_add_co_u32 v5, vcc_lo, s4, v7
	v_add_co_ci_u32_e32 v6, vcc_lo, s5, v8, vcc_lo
	v_add_co_u32 v7, vcc_lo, s4, v11
	v_lshlrev_b64 v[10:11], 4, v[9:10]
	v_add_co_ci_u32_e32 v8, vcc_lo, s5, v12, vcc_lo
	v_add_co_u32 v23, vcc_lo, s4, v23
	v_add_co_ci_u32_e32 v24, vcc_lo, s5, v24, vcc_lo
	s_delay_alu instid0(VALU_DEP_4)
	v_add_co_u32 v25, vcc_lo, s4, v10
	v_add_co_ci_u32_e32 v26, vcc_lo, s5, v11, vcc_lo
	s_clause 0x3
	global_load_b128 v[17:20], v[3:4], off slc dlc
	global_load_b128 v[13:16], v[1:2], off slc dlc
	;; [unrolled: 1-line block ×4, first 2 shown]
	v_add_nc_u32_e32 v27, s3, v9
	global_load_b128 v[9:12], v69, s[6:7]
	s_clause 0x1
	global_load_b128 v[61:64], v[23:24], off slc dlc
	global_load_b128 v[65:68], v[25:26], off slc dlc
	v_dual_mov_b32 v28, v22 :: v_dual_add_nc_u32 v21, s3, v21
	v_mov_b32_e32 v71, v22
	s_delay_alu instid0(VALU_DEP_2) | instskip(NEXT) | instid1(VALU_DEP_3)
	v_lshlrev_b64 v[29:30], 4, v[21:22]
	v_lshlrev_b64 v[23:24], 4, v[27:28]
	v_add_nc_u32_e32 v21, s3, v21
	s_delay_alu instid0(VALU_DEP_3) | instskip(NEXT) | instid1(VALU_DEP_4)
	v_add_co_u32 v25, vcc_lo, s4, v29
	v_add_co_ci_u32_e32 v26, vcc_lo, s5, v30, vcc_lo
	s_delay_alu instid0(VALU_DEP_4)
	v_add_co_u32 v23, vcc_lo, s4, v23
	v_add_co_ci_u32_e32 v24, vcc_lo, s5, v24, vcc_lo
	v_lshlrev_b64 v[29:30], 4, v[21:22]
	s_clause 0x1
	global_load_b128 v[53:56], v[25:26], off slc dlc
	global_load_b128 v[57:60], v[23:24], off slc dlc
	v_add_nc_u32_e32 v21, s3, v21
	v_add_co_u32 v25, vcc_lo, s4, v29
	v_add_co_ci_u32_e32 v26, vcc_lo, s5, v30, vcc_lo
	s_delay_alu instid0(VALU_DEP_3)
	v_lshlrev_b64 v[29:30], 4, v[21:22]
	v_add_nc_u32_e32 v21, s3, v21
	s_waitcnt vmcnt(4)
	v_pk_mul_f16 v78, v9, v17
	v_pk_mul_f16 v13, v9, v13
	;; [unrolled: 1-line block ×3, first 2 shown]
	s_delay_alu instid0(VALU_DEP_3) | instskip(NEXT) | instid1(VALU_DEP_3)
	v_pk_fma_f16 v18, v18, v10, v78
	v_pk_fma_f16 v13, v14, v10, v13
	s_delay_alu instid0(VALU_DEP_3)
	v_pk_fma_f16 v5, v6, v10, v5
	s_waitcnt vmcnt(3)
	v_pk_mul_f16 v6, v9, v61
	v_pk_fma_f16 v14, v19, v11, v18
	v_pk_fma_f16 v13, v15, v11, v13
	s_waitcnt vmcnt(2)
	v_pk_mul_f16 v18, v9, v65
	s_delay_alu instid0(VALU_DEP_3) | instskip(NEXT) | instid1(VALU_DEP_3)
	v_pk_fma_f16 v14, v20, v12, v14
	v_pk_fma_f16 v13, v16, v12, v13
	s_delay_alu instid0(VALU_DEP_2) | instskip(SKIP_3) | instid1(VALU_DEP_2)
	v_cvt_f32_f16_e32 v16, v14
	v_lshrrev_b32_e32 v14, 16, v14
	s_waitcnt vmcnt(0)
	v_pk_mul_f16 v15, v9, v57
	v_cvt_f32_f16_e32 v14, v14
	s_delay_alu instid0(VALU_DEP_1) | instskip(NEXT) | instid1(VALU_DEP_1)
	v_dual_add_f32 v14, v16, v14 :: v_dual_add_nc_u32 v27, s3, v27
	v_lshlrev_b64 v[23:24], 4, v[27:28]
	v_add_nc_u32_e32 v27, s3, v27
	s_delay_alu instid0(VALU_DEP_2) | instskip(NEXT) | instid1(VALU_DEP_3)
	v_add_co_u32 v23, vcc_lo, s4, v23
	v_add_co_ci_u32_e32 v24, vcc_lo, s5, v24, vcc_lo
	s_clause 0x1
	global_load_b128 v[45:48], v[25:26], off slc dlc
	global_load_b128 v[49:52], v[23:24], off slc dlc
	v_lshlrev_b64 v[23:24], 4, v[27:28]
	v_add_co_u32 v25, vcc_lo, s4, v29
	v_add_co_ci_u32_e32 v26, vcc_lo, s5, v30, vcc_lo
	v_add_nc_u32_e32 v70, s3, v27
	s_delay_alu instid0(VALU_DEP_4)
	v_add_co_u32 v23, vcc_lo, s4, v23
	v_add_co_ci_u32_e32 v24, vcc_lo, s5, v24, vcc_lo
	v_lshlrev_b64 v[28:29], 4, v[21:22]
	s_clause 0x1
	global_load_b128 v[37:40], v[25:26], off slc dlc
	global_load_b128 v[41:44], v[23:24], off slc dlc
	v_lshlrev_b64 v[23:24], 4, v[70:71]
	v_add_nc_u32_e32 v21, s3, v21
	v_add_co_u32 v25, vcc_lo, s4, v28
	v_add_co_ci_u32_e32 v26, vcc_lo, s5, v29, vcc_lo
	s_delay_alu instid0(VALU_DEP_4)
	v_add_co_u32 v23, vcc_lo, s4, v23
	v_add_co_ci_u32_e32 v24, vcc_lo, s5, v24, vcc_lo
	s_clause 0x1
	global_load_b128 v[29:32], v[25:26], off slc dlc
	global_load_b128 v[33:36], v[23:24], off slc dlc
	v_lshlrev_b64 v[23:24], 4, v[21:22]
	v_add_nc_u32_e32 v21, s3, v70
	v_mbcnt_lo_u32_b32 v70, -1, 0
	s_delay_alu instid0(VALU_DEP_2) | instskip(NEXT) | instid1(VALU_DEP_4)
	v_lshlrev_b64 v[21:22], 4, v[21:22]
	v_add_co_u32 v23, vcc_lo, s4, v23
	v_add_co_ci_u32_e32 v24, vcc_lo, s5, v24, vcc_lo
	s_delay_alu instid0(VALU_DEP_4) | instskip(NEXT) | instid1(VALU_DEP_4)
	v_or_b32_e32 v71, 32, v70
	v_add_co_u32 v21, vcc_lo, s4, v21
	v_add_co_ci_u32_e32 v22, vcc_lo, s5, v22, vcc_lo
	global_load_b128 v[25:28], v[23:24], off slc dlc
	v_xor_b32_e32 v72, 16, v70
	v_cmp_gt_i32_e32 vcc_lo, 32, v71
	global_load_b128 v[21:24], v[21:22], off slc dlc
	v_xor_b32_e32 v73, 8, v70
	v_xor_b32_e32 v74, 4, v70
	;; [unrolled: 1-line block ×3, first 2 shown]
	v_cndmask_b32_e32 v71, v70, v71, vcc_lo
	v_cmp_gt_i32_e32 vcc_lo, 32, v72
	v_xor_b32_e32 v76, 1, v70
	s_mov_b32 s4, exec_lo
	v_cndmask_b32_e32 v72, v70, v72, vcc_lo
	v_cmp_gt_i32_e32 vcc_lo, 32, v73
	v_cndmask_b32_e32 v73, v70, v73, vcc_lo
	v_cmp_gt_i32_e32 vcc_lo, 32, v74
	;; [unrolled: 2-line block ×4, first 2 shown]
	v_cndmask_b32_e32 v76, v70, v76, vcc_lo
	v_lshlrev_b32_e32 v70, 2, v72
	v_lshlrev_b32_e32 v72, 2, v73
	v_pk_mul_f16 v73, v9, v1
	v_lshlrev_b32_e32 v77, 2, v71
	s_delay_alu instid0(VALU_DEP_2) | instskip(NEXT) | instid1(VALU_DEP_1)
	v_pk_fma_f16 v2, v2, v10, v73
	v_pk_fma_f16 v2, v3, v11, v2
	;; [unrolled: 1-line block ×5, first 2 shown]
	v_pk_mul_f16 v7, v9, v53
	v_pk_fma_f16 v2, v4, v12, v2
	v_pk_fma_f16 v3, v8, v12, v3
	;; [unrolled: 1-line block ×6, first 2 shown]
	v_cvt_f32_f16_e32 v19, v2
	v_pk_fma_f16 v4, v64, v12, v4
	v_lshrrev_b32_e32 v2, 16, v2
	v_cvt_f32_f16_e32 v20, v3
	v_lshrrev_b32_e32 v3, 16, v3
	v_pk_fma_f16 v7, v59, v11, v7
	v_cvt_f32_f16_e32 v16, v4
	v_lshrrev_b32_e32 v4, 16, v4
	v_cvt_f32_f16_e32 v18, v13
	v_lshrrev_b32_e32 v13, 16, v13
	v_pk_fma_f16 v6, v55, v11, v6
	v_cvt_f32_f16_e32 v2, v2
	v_cvt_f32_f16_e32 v4, v4
	;; [unrolled: 1-line block ×3, first 2 shown]
	v_pk_fma_f16 v7, v60, v12, v7
	v_cvt_f32_f16_e32 v13, v13
	v_pk_fma_f16 v6, v56, v12, v6
	v_add_f32_e32 v4, v16, v4
	v_dual_add_f32 v2, v19, v2 :: v_dual_add_f32 v3, v20, v3
	v_cvt_f32_f16_e32 v19, v7
	v_lshrrev_b32_e32 v7, 16, v7
	v_pk_fma_f16 v5, v68, v12, v5
	s_delay_alu instid0(VALU_DEP_2) | instskip(NEXT) | instid1(VALU_DEP_1)
	v_cvt_f32_f16_e32 v7, v7
	v_add_f32_e32 v7, v19, v7
	s_waitcnt vmcnt(7)
	v_pk_mul_f16 v8, v9, v45
	s_waitcnt vmcnt(6)
	v_pk_mul_f16 v15, v9, v49
	v_cvt_f32_f16_e32 v45, v5
	v_lshrrev_b32_e32 v5, 16, v5
	v_pk_fma_f16 v8, v46, v10, v8
	s_delay_alu instid0(VALU_DEP_4) | instskip(NEXT) | instid1(VALU_DEP_3)
	v_pk_fma_f16 v15, v50, v10, v15
	v_cvt_f32_f16_e32 v5, v5
	s_delay_alu instid0(VALU_DEP_3) | instskip(NEXT) | instid1(VALU_DEP_3)
	v_pk_fma_f16 v8, v47, v11, v8
	v_pk_fma_f16 v15, v51, v11, v15
	s_waitcnt vmcnt(5)
	v_pk_mul_f16 v37, v9, v37
	s_waitcnt vmcnt(4)
	v_pk_mul_f16 v41, v9, v41
	v_pk_fma_f16 v8, v48, v12, v8
	v_pk_fma_f16 v15, v52, v12, v15
	;; [unrolled: 1-line block ×3, first 2 shown]
	s_delay_alu instid0(VALU_DEP_4) | instskip(NEXT) | instid1(VALU_DEP_4)
	v_pk_fma_f16 v38, v42, v10, v41
	v_cvt_f32_f16_e32 v16, v8
	v_lshrrev_b32_e32 v8, 16, v8
	s_delay_alu instid0(VALU_DEP_4) | instskip(NEXT) | instid1(VALU_DEP_4)
	v_pk_fma_f16 v20, v39, v11, v37
	v_pk_fma_f16 v37, v43, v11, v38
	v_cvt_f32_f16_e32 v38, v15
	s_delay_alu instid0(VALU_DEP_4)
	v_cvt_f32_f16_e32 v8, v8
	s_waitcnt vmcnt(3)
	v_pk_mul_f16 v29, v9, v29
	s_waitcnt vmcnt(2)
	v_pk_mul_f16 v33, v9, v33
	v_pk_fma_f16 v20, v40, v12, v20
	v_pk_fma_f16 v37, v44, v12, v37
	v_add_f32_e32 v8, v16, v8
	v_pk_fma_f16 v29, v30, v10, v29
	v_pk_fma_f16 v30, v34, v10, v33
	ds_bpermute_b32 v33, v77, v14
	v_lshrrev_b32_e32 v19, 16, v20
	v_lshrrev_b32_e32 v15, 16, v15
	v_pk_fma_f16 v29, v31, v11, v29
	v_pk_fma_f16 v30, v35, v11, v30
	v_lshrrev_b32_e32 v31, 16, v37
	v_cvt_f32_f16_e32 v16, v19
	v_cvt_f32_f16_e32 v15, v15
	v_pk_fma_f16 v29, v32, v12, v29
	v_pk_fma_f16 v30, v36, v12, v30
	v_cvt_f32_f16_e32 v19, v31
	s_waitcnt vmcnt(1)
	v_pk_mul_f16 v25, v9, v25
	s_waitcnt vmcnt(0)
	v_pk_mul_f16 v9, v9, v21
	v_cvt_f32_f16_e32 v31, v30
	s_delay_alu instid0(VALU_DEP_3) | instskip(SKIP_1) | instid1(VALU_DEP_4)
	v_pk_fma_f16 v25, v26, v10, v25
	v_lshrrev_b32_e32 v30, 16, v30
	v_pk_fma_f16 v9, v22, v10, v9
	s_delay_alu instid0(VALU_DEP_3) | instskip(SKIP_2) | instid1(VALU_DEP_4)
	v_pk_fma_f16 v25, v27, v11, v25
	v_cvt_f32_f16_e32 v27, v29
	v_lshrrev_b32_e32 v29, 16, v29
	v_pk_fma_f16 v9, v23, v11, v9
	s_delay_alu instid0(VALU_DEP_4) | instskip(NEXT) | instid1(VALU_DEP_2)
	v_pk_fma_f16 v25, v28, v12, v25
	v_pk_fma_f16 v9, v24, v12, v9
	s_waitcnt lgkmcnt(0)
	v_add_f32_e32 v12, v14, v33
	ds_bpermute_b32 v14, v77, v8
	v_add_f32_e32 v13, v18, v13
	v_cvt_f32_f16_e32 v18, v6
	v_lshrrev_b32_e32 v6, 16, v6
	ds_bpermute_b32 v21, v77, v2
	v_lshlrev_b32_e32 v17, 2, v75
	ds_bpermute_b32 v10, v77, v4
	v_lshlrev_b32_e32 v1, 2, v76
	v_cvt_f32_f16_e32 v6, v6
	v_cvt_f32_f16_e32 v28, v25
	v_lshrrev_b32_e32 v25, 16, v25
	s_delay_alu instid0(VALU_DEP_3) | instskip(SKIP_2) | instid1(VALU_DEP_4)
	v_add_f32_e32 v6, v18, v6
	v_cvt_f32_f16_e32 v18, v20
	v_cvt_f32_f16_e32 v20, v37
	v_cvt_f32_f16_e32 v25, v25
	ds_bpermute_b32 v11, v77, v6
	v_add_f32_e32 v16, v18, v16
	v_add_f32_e32 v18, v20, v19
	v_cvt_f32_f16_e32 v19, v29
	ds_bpermute_b32 v29, v70, v12
	v_add_f32_e32 v15, v38, v15
	s_waitcnt lgkmcnt(3)
	v_add_f32_e32 v2, v2, v21
	ds_bpermute_b32 v21, v77, v16
	v_add_f32_e32 v8, v8, v14
	s_waitcnt lgkmcnt(3)
	v_dual_add_f32 v4, v4, v10 :: v_dual_add_f32 v5, v45, v5
	v_cvt_f32_f16_e32 v20, v30
	v_lshlrev_b32_e32 v71, 2, v74
	ds_bpermute_b32 v34, v77, v13
	v_add_f32_e32 v20, v31, v20
	s_waitcnt lgkmcnt(3)
	v_add_f32_e32 v6, v6, v11
	ds_bpermute_b32 v22, v77, v5
	s_waitcnt lgkmcnt(3)
	v_add_f32_e32 v12, v12, v29
	ds_bpermute_b32 v24, v77, v15
	;; [unrolled: 3-line block ×3, first 2 shown]
	ds_bpermute_b32 v21, v70, v8
	s_waitcnt lgkmcnt(2)
	v_add_f32_e32 v14, v15, v24
	ds_bpermute_b32 v26, v77, v3
	ds_bpermute_b32 v24, v70, v6
	s_waitcnt lgkmcnt(2)
	v_dual_add_f32 v7, v7, v23 :: v_dual_add_f32 v8, v8, v21
	ds_bpermute_b32 v23, v70, v4
	v_add_f32_e32 v5, v5, v22
	ds_bpermute_b32 v22, v77, v20
	ds_bpermute_b32 v32, v70, v7
	s_waitcnt lgkmcnt(4)
	v_add_f32_e32 v3, v3, v26
	ds_bpermute_b32 v26, v77, v18
	v_add_f32_e32 v19, v27, v19
	v_cvt_f32_f16_e32 v27, v9
	v_lshrrev_b32_e32 v9, 16, v9
	s_waitcnt lgkmcnt(3)
	v_add_f32_e32 v4, v4, v23
	ds_bpermute_b32 v31, v70, v3
	v_add_f32_e32 v6, v6, v24
	v_cvt_f32_f16_e32 v9, v9
	ds_bpermute_b32 v24, v72, v4
	s_waitcnt lgkmcnt(2)
	v_add_f32_e32 v18, v18, v26
	ds_bpermute_b32 v10, v77, v19
	v_add_f32_e32 v25, v28, v25
	ds_bpermute_b32 v28, v70, v2
	ds_bpermute_b32 v26, v70, v14
	v_add_f32_e32 v9, v27, v9
	v_add_f32_e32 v13, v13, v34
	ds_bpermute_b32 v27, v70, v5
	s_waitcnt lgkmcnt(4)
	v_add_f32_e32 v4, v4, v24
	s_waitcnt lgkmcnt(3)
	v_add_f32_e32 v10, v19, v10
	ds_bpermute_b32 v11, v77, v25
	s_waitcnt lgkmcnt(3)
	v_add_f32_e32 v2, v2, v28
	ds_bpermute_b32 v28, v72, v12
	;; [unrolled: 3-line block ×3, first 2 shown]
	ds_bpermute_b32 v15, v77, v9
	v_add_f32_e32 v19, v20, v22
	ds_bpermute_b32 v22, v70, v18
	ds_bpermute_b32 v30, v70, v13
	;; [unrolled: 1-line block ×4, first 2 shown]
	v_add_f32_e32 v3, v3, v31
	s_waitcnt lgkmcnt(8)
	v_add_f32_e32 v5, v5, v27
	ds_bpermute_b32 v27, v72, v2
	v_add_f32_e32 v7, v7, v32
	ds_bpermute_b32 v31, v72, v5
	s_waitcnt lgkmcnt(8)
	v_dual_add_f32 v11, v25, v11 :: v_dual_add_f32 v12, v12, v28
	s_waitcnt lgkmcnt(7)
	v_add_f32_e32 v10, v10, v23
	ds_bpermute_b32 v25, v70, v19
	s_waitcnt lgkmcnt(7)
	v_add_f32_e32 v9, v9, v15
	ds_bpermute_b32 v15, v70, v11
	;; [unrolled: 3-line block ×3, first 2 shown]
	s_waitcnt lgkmcnt(5)
	v_add_f32_e32 v6, v6, v26
	v_dual_add_f32 v13, v13, v30 :: v_dual_add_f32 v16, v16, v20
	ds_bpermute_b32 v21, v70, v9
	ds_bpermute_b32 v20, v72, v8
	s_waitcnt lgkmcnt(6)
	v_add_f32_e32 v2, v2, v27
	ds_bpermute_b32 v29, v72, v13
	ds_bpermute_b32 v32, v72, v7
	;; [unrolled: 1-line block ×6, first 2 shown]
	s_waitcnt lgkmcnt(10)
	v_add_f32_e32 v19, v19, v25
	ds_bpermute_b32 v25, v72, v18
	s_waitcnt lgkmcnt(10)
	v_add_f32_e32 v11, v11, v15
	ds_bpermute_b32 v15, v72, v10
	;; [unrolled: 3-line block ×3, first 2 shown]
	ds_bpermute_b32 v22, v71, v6
	s_waitcnt lgkmcnt(10)
	v_dual_add_f32 v9, v9, v21 :: v_dual_add_f32 v8, v8, v20
	s_waitcnt lgkmcnt(9)
	v_add_f32_e32 v13, v13, v29
	ds_bpermute_b32 v29, v71, v2
	s_waitcnt lgkmcnt(8)
	v_dual_add_f32 v7, v7, v32 :: v_dual_add_f32 v12, v12, v27
	ds_bpermute_b32 v20, v72, v9
	s_waitcnt lgkmcnt(7)
	v_dual_add_f32 v3, v3, v30 :: v_dual_add_f32 v16, v16, v23
	v_add_f32_e32 v5, v5, v31
	ds_bpermute_b32 v28, v71, v13
	ds_bpermute_b32 v23, v71, v8
	s_waitcnt lgkmcnt(7)
	v_add_f32_e32 v18, v18, v25
	ds_bpermute_b32 v21, v72, v11
	s_waitcnt lgkmcnt(7)
	v_add_f32_e32 v10, v10, v15
	ds_bpermute_b32 v30, v71, v3
	s_waitcnt lgkmcnt(6)
	v_dual_add_f32 v15, v19, v24 :: v_dual_add_f32 v6, v6, v22
	ds_bpermute_b32 v24, v71, v18
	ds_bpermute_b32 v25, v71, v14
	;; [unrolled: 1-line block ×5, first 2 shown]
	s_waitcnt lgkmcnt(10)
	v_add_f32_e32 v2, v2, v29
	ds_bpermute_b32 v31, v71, v5
	s_waitcnt lgkmcnt(10)
	v_dual_add_f32 v4, v4, v26 :: v_dual_add_f32 v9, v9, v20
	ds_bpermute_b32 v26, v71, v15
	s_waitcnt lgkmcnt(9)
	v_dual_add_f32 v13, v13, v28 :: v_dual_add_f32 v8, v8, v23
	ds_bpermute_b32 v35, v17, v4
	s_waitcnt lgkmcnt(9)
	v_add_f32_e32 v11, v11, v21
	ds_bpermute_b32 v21, v71, v10
	s_waitcnt lgkmcnt(9)
	v_add_f32_e32 v3, v3, v30
	ds_bpermute_b32 v30, v17, v2
	ds_bpermute_b32 v29, v17, v13
	s_waitcnt lgkmcnt(10)
	v_add_f32_e32 v24, v18, v24
	ds_bpermute_b32 v20, v71, v11
	s_waitcnt lgkmcnt(9)
	v_dual_add_f32 v23, v14, v25 :: v_dual_add_f32 v28, v12, v27
	ds_bpermute_b32 v34, v71, v9
	ds_bpermute_b32 v33, v17, v3
	s_waitcnt lgkmcnt(8)
	v_dual_add_f32 v5, v5, v31 :: v_dual_add_f32 v22, v7, v32
	ds_bpermute_b32 v14, v17, v6
	ds_bpermute_b32 v12, v17, v8
	v_add_f32_e32 v19, v16, v19
	ds_bpermute_b32 v36, v17, v5
	s_waitcnt lgkmcnt(10)
	v_add_f32_e32 v15, v15, v26
	ds_bpermute_b32 v25, v17, v22
	s_waitcnt lgkmcnt(9)
	v_add_f32_e32 v37, v10, v21
	s_waitcnt lgkmcnt(8)
	v_add_f32_e32 v32, v2, v30
	ds_bpermute_b32 v2, v17, v19
	s_waitcnt lgkmcnt(7)
	v_dual_add_f32 v31, v13, v29 :: v_dual_add_f32 v38, v11, v20
	v_add_f32_e32 v20, v4, v35
	ds_bpermute_b32 v27, v17, v23
	s_waitcnt lgkmcnt(7)
	v_add_f32_e32 v39, v9, v34
	s_waitcnt lgkmcnt(6)
	v_add_f32_e32 v7, v3, v33
	ds_bpermute_b32 v3, v17, v24
	ds_bpermute_b32 v41, v17, v38
	s_waitcnt lgkmcnt(7)
	v_add_f32_e32 v18, v6, v14
	s_waitcnt lgkmcnt(6)
	v_add_f32_e32 v14, v8, v12
	ds_bpermute_b32 v40, v17, v15
	s_waitcnt lgkmcnt(6)
	v_add_f32_e32 v16, v5, v36
	ds_bpermute_b32 v9, v17, v37
	;; [unrolled: 3-line block ×3, first 2 shown]
	ds_bpermute_b32 v34, v1, v31
	ds_bpermute_b32 v35, v1, v32
	;; [unrolled: 1-line block ×4, first 2 shown]
	s_waitcnt lgkmcnt(10)
	v_add_f32_e32 v11, v19, v2
	ds_bpermute_b32 v26, v1, v16
	s_waitcnt lgkmcnt(10)
	v_add_f32_e32 v10, v23, v27
	ds_bpermute_b32 v42, v17, v39
	ds_bpermute_b32 v27, v1, v18
	s_waitcnt lgkmcnt(11)
	v_add_f32_e32 v8, v24, v3
	s_waitcnt lgkmcnt(10)
	v_add_f32_e32 v4, v38, v41
	ds_bpermute_b32 v23, v1, v13
	ds_bpermute_b32 v24, v1, v14
	s_waitcnt lgkmcnt(11)
	v_add_f32_e32 v5, v15, v40
	ds_bpermute_b32 v21, v1, v10
	s_waitcnt lgkmcnt(11)
	v_add_f32_e32 v9, v37, v9
	ds_bpermute_b32 v25, v1, v11
	ds_bpermute_b32 v22, v1, v8
	;; [unrolled: 1-line block ×4, first 2 shown]
	s_waitcnt lgkmcnt(8)
	v_dual_add_f32 v2, v39, v42 :: v_dual_and_b32 v3, 63, v0
	ds_bpermute_b32 v19, v1, v9
	ds_bpermute_b32 v6, v1, v2
	v_cmpx_gt_u32_e32 16, v3
	s_cbranch_execz .LBB3_2
; %bb.1:
	v_dual_add_f32 v28, v28, v33 :: v_dual_add_f32 v31, v31, v34
	v_cmp_eq_u32_e32 vcc_lo, 1, v3
	v_dual_add_f32 v32, v32, v35 :: v_dual_add_f32 v7, v7, v29
	v_add_f32_e32 v16, v16, v26
	v_add_f32_e32 v20, v20, v30
	v_cndmask_b32_e32 v28, v28, v31, vcc_lo
	v_cmp_eq_u32_e32 vcc_lo, 2, v3
	s_waitcnt lgkmcnt(4)
	v_dual_add_f32 v11, v11, v25 :: v_dual_add_f32 v8, v8, v22
	v_add_f32_e32 v13, v13, v23
	s_waitcnt lgkmcnt(3)
	v_dual_add_f32 v5, v5, v15 :: v_dual_cndmask_b32 v28, v28, v32
	v_cmp_eq_u32_e32 vcc_lo, 3, v3
	v_add_f32_e32 v14, v14, v24
	v_add_f32_e32 v18, v18, v27
	v_add_f32_e32 v10, v10, v21
	s_waitcnt lgkmcnt(2)
	v_add_f32_e32 v4, v4, v12
	v_cndmask_b32_e32 v7, v28, v7, vcc_lo
	v_cmp_eq_u32_e32 vcc_lo, 4, v3
	s_waitcnt lgkmcnt(0)
	s_delay_alu instid0(VALU_DEP_2) | instskip(SKIP_1) | instid1(VALU_DEP_2)
	v_dual_add_f32 v2, v2, v6 :: v_dual_cndmask_b32 v7, v7, v20
	v_cmp_eq_u32_e32 vcc_lo, 5, v3
	v_cndmask_b32_e32 v7, v7, v16, vcc_lo
	v_cmp_eq_u32_e32 vcc_lo, 6, v3
	s_delay_alu instid0(VALU_DEP_2) | instskip(SKIP_1) | instid1(VALU_DEP_2)
	v_cndmask_b32_e32 v7, v7, v18, vcc_lo
	v_cmp_eq_u32_e32 vcc_lo, 7, v3
	v_cndmask_b32_e32 v7, v7, v13, vcc_lo
	v_cmp_eq_u32_e32 vcc_lo, 8, v3
	s_delay_alu instid0(VALU_DEP_2) | instskip(SKIP_1) | instid1(VALU_DEP_2)
	v_cndmask_b32_e32 v7, v7, v14, vcc_lo
	;; [unrolled: 5-line block ×3, first 2 shown]
	v_cmp_eq_u32_e32 vcc_lo, 11, v3
	v_cndmask_b32_e32 v7, v7, v8, vcc_lo
	v_cmp_eq_u32_e32 vcc_lo, 12, v3
	v_lshrrev_b32_e32 v8, 4, v0
	s_delay_alu instid0(VALU_DEP_1) | instskip(NEXT) | instid1(VALU_DEP_1)
	v_dual_add_f32 v9, v9, v19 :: v_dual_and_b32 v6, 60, v8
	v_cndmask_b32_e32 v7, v7, v9, vcc_lo
	v_cmp_eq_u32_e32 vcc_lo, 13, v3
	s_delay_alu instid0(VALU_DEP_2) | instskip(SKIP_1) | instid1(VALU_DEP_2)
	v_cndmask_b32_e32 v5, v7, v5, vcc_lo
	v_cmp_eq_u32_e32 vcc_lo, 14, v3
	v_cndmask_b32_e32 v4, v5, v4, vcc_lo
	v_cmp_eq_u32_e32 vcc_lo, 15, v3
	v_lshl_or_b32 v5, v3, 8, v6
	s_delay_alu instid0(VALU_DEP_3)
	v_cndmask_b32_e32 v2, v4, v2, vcc_lo
	ds_store_b32 v5, v2
.LBB3_2:
	s_or_b32 exec_lo, exec_lo, s4
	s_waitcnt lgkmcnt(0)
	s_barrier
	buffer_gl0_inv
	s_mov_b32 s4, exec_lo
	v_cmpx_gt_u32_e32 0x100, v0
	s_cbranch_execz .LBB3_7
; %bb.3:
	v_dual_mov_b32 v2, 0 :: v_dual_and_b32 v3, 15, v0
	s_lshr_b32 s3, s3, 6
	s_delay_alu instid0(VALU_DEP_1) | instid1(SALU_CYCLE_1)
	v_cmp_gt_u32_e32 vcc_lo, s3, v3
	s_and_saveexec_b32 s3, vcc_lo
	s_cbranch_execz .LBB3_5
; %bb.4:
	v_lshlrev_b32_e32 v2, 2, v3
	s_delay_alu instid0(VALU_DEP_1)
	v_and_or_b32 v2, 0x3f00, v69, v2
	ds_load_b32 v2, v2
.LBB3_5:
	s_or_b32 exec_lo, exec_lo, s3
	s_waitcnt lgkmcnt(0)
	ds_bpermute_b32 v3, v72, v2
	s_waitcnt lgkmcnt(0)
	v_add_f32_e32 v2, v2, v3
	ds_bpermute_b32 v3, v71, v2
	s_waitcnt lgkmcnt(0)
	v_add_f32_e32 v2, v2, v3
	ds_bpermute_b32 v3, v17, v2
	s_waitcnt lgkmcnt(0)
	v_dual_add_f32 v2, v2, v3 :: v_dual_and_b32 v3, 31, v0
	ds_bpermute_b32 v1, v1, v2
	v_cmp_eq_u32_e32 vcc_lo, 0, v3
	s_waitcnt lgkmcnt(0)
	v_add_f32_e32 v2, v2, v1
	ds_bpermute_b32 v1, v70, v2
	s_and_b32 exec_lo, exec_lo, vcc_lo
	s_cbranch_execz .LBB3_7
; %bb.6:
	v_mul_f32_e32 v3, 0xbfb8aa3b, v2
	v_lshrrev_b32_e32 v0, 5, v0
	v_cmp_nlt_f32_e32 vcc_lo, 0x42ce8ed0, v2
	s_load_b64 s[0:1], s[0:1], 0x10
	s_delay_alu instid0(VALU_DEP_3) | instskip(SKIP_2) | instid1(VALU_DEP_3)
	v_rndne_f32_e32 v4, v3
	v_fma_f32 v5, 0xbfb8aa3b, v2, -v3
	v_or_b32_e32 v0, s2, v0
	v_sub_f32_e32 v3, v3, v4
	s_delay_alu instid0(VALU_DEP_2) | instskip(SKIP_1) | instid1(VALU_DEP_2)
	v_dual_fmamk_f32 v5, v2, 0xb2a5705f, v5 :: v_dual_lshlrev_b32 v0, 1, v0
	v_cvt_i32_f32_e32 v4, v4
	v_add_f32_e32 v3, v3, v5
	s_delay_alu instid0(VALU_DEP_1) | instskip(SKIP_2) | instid1(VALU_DEP_1)
	v_exp_f32_e32 v3, v3
	s_waitcnt_depctr 0xfff
	v_ldexp_f32 v3, v3, v4
	v_cndmask_b32_e32 v3, 0, v3, vcc_lo
	v_cmp_ngt_f32_e32 vcc_lo, 0xc2b17218, v2
	s_delay_alu instid0(VALU_DEP_2) | instskip(NEXT) | instid1(VALU_DEP_1)
	v_cndmask_b32_e32 v3, 0x7f800000, v3, vcc_lo
	v_add_f32_e32 v3, 1.0, v3
	s_delay_alu instid0(VALU_DEP_1) | instskip(SKIP_1) | instid1(VALU_DEP_2)
	v_div_scale_f32 v4, null, v3, v3, v2
	v_div_scale_f32 v7, vcc_lo, v2, v3, v2
	v_rcp_f32_e32 v5, v4
	s_waitcnt_depctr 0xfff
	v_fma_f32 v6, -v4, v5, 1.0
	s_delay_alu instid0(VALU_DEP_1) | instskip(NEXT) | instid1(VALU_DEP_1)
	v_fmac_f32_e32 v5, v6, v5
	v_mul_f32_e32 v6, v7, v5
	s_delay_alu instid0(VALU_DEP_1) | instskip(NEXT) | instid1(VALU_DEP_1)
	v_fma_f32 v8, -v4, v6, v7
	v_fmac_f32_e32 v6, v8, v5
	s_delay_alu instid0(VALU_DEP_1) | instskip(NEXT) | instid1(VALU_DEP_1)
	v_fma_f32 v4, -v4, v6, v7
	v_div_fmas_f32 v4, v4, v5, v6
	s_delay_alu instid0(VALU_DEP_1) | instskip(SKIP_1) | instid1(VALU_DEP_1)
	v_div_fixup_f32 v2, v4, v3, v2
	s_waitcnt lgkmcnt(0)
	v_fma_mixlo_f16 v1, v2, v1, 0
	global_store_b16 v0, v1, s[0:1]
.LBB3_7:
	s_nop 0
	s_sendmsg sendmsg(MSG_DEALLOC_VGPRS)
	s_endpgm
	.section	.rodata,"a",@progbits
	.p2align	6, 0x0
	.amdhsa_kernel _Z18LLGemm_Silu_kernelILi16EEvP15HIP_vector_typeIfLj4EEP7__half2PDF16_i
		.amdhsa_group_segment_fixed_size 4096
		.amdhsa_private_segment_fixed_size 0
		.amdhsa_kernarg_size 288
		.amdhsa_user_sgpr_count 15
		.amdhsa_user_sgpr_dispatch_ptr 0
		.amdhsa_user_sgpr_queue_ptr 0
		.amdhsa_user_sgpr_kernarg_segment_ptr 1
		.amdhsa_user_sgpr_dispatch_id 0
		.amdhsa_user_sgpr_private_segment_size 0
		.amdhsa_wavefront_size32 1
		.amdhsa_uses_dynamic_stack 0
		.amdhsa_enable_private_segment 0
		.amdhsa_system_sgpr_workgroup_id_x 1
		.amdhsa_system_sgpr_workgroup_id_y 0
		.amdhsa_system_sgpr_workgroup_id_z 0
		.amdhsa_system_sgpr_workgroup_info 0
		.amdhsa_system_vgpr_workitem_id 0
		.amdhsa_next_free_vgpr 79
		.amdhsa_next_free_sgpr 16
		.amdhsa_reserve_vcc 1
		.amdhsa_float_round_mode_32 0
		.amdhsa_float_round_mode_16_64 0
		.amdhsa_float_denorm_mode_32 3
		.amdhsa_float_denorm_mode_16_64 3
		.amdhsa_dx10_clamp 1
		.amdhsa_ieee_mode 1
		.amdhsa_fp16_overflow 0
		.amdhsa_workgroup_processor_mode 1
		.amdhsa_memory_ordered 1
		.amdhsa_forward_progress 0
		.amdhsa_shared_vgpr_count 0
		.amdhsa_exception_fp_ieee_invalid_op 0
		.amdhsa_exception_fp_denorm_src 0
		.amdhsa_exception_fp_ieee_div_zero 0
		.amdhsa_exception_fp_ieee_overflow 0
		.amdhsa_exception_fp_ieee_underflow 0
		.amdhsa_exception_fp_ieee_inexact 0
		.amdhsa_exception_int_div_zero 0
	.end_amdhsa_kernel
	.section	.text._Z18LLGemm_Silu_kernelILi16EEvP15HIP_vector_typeIfLj4EEP7__half2PDF16_i,"axG",@progbits,_Z18LLGemm_Silu_kernelILi16EEvP15HIP_vector_typeIfLj4EEP7__half2PDF16_i,comdat
.Lfunc_end3:
	.size	_Z18LLGemm_Silu_kernelILi16EEvP15HIP_vector_typeIfLj4EEP7__half2PDF16_i, .Lfunc_end3-_Z18LLGemm_Silu_kernelILi16EEvP15HIP_vector_typeIfLj4EEP7__half2PDF16_i
                                        ; -- End function
	.section	.AMDGPU.csdata,"",@progbits
; Kernel info:
; codeLenInByte = 3700
; NumSgprs: 18
; NumVgprs: 79
; ScratchSize: 0
; MemoryBound: 0
; FloatMode: 240
; IeeeMode: 1
; LDSByteSize: 4096 bytes/workgroup (compile time only)
; SGPRBlocks: 2
; VGPRBlocks: 9
; NumSGPRsForWavesPerEU: 18
; NumVGPRsForWavesPerEU: 79
; Occupancy: 16
; WaveLimiterHint : 0
; COMPUTE_PGM_RSRC2:SCRATCH_EN: 0
; COMPUTE_PGM_RSRC2:USER_SGPR: 15
; COMPUTE_PGM_RSRC2:TRAP_HANDLER: 0
; COMPUTE_PGM_RSRC2:TGID_X_EN: 1
; COMPUTE_PGM_RSRC2:TGID_Y_EN: 0
; COMPUTE_PGM_RSRC2:TGID_Z_EN: 0
; COMPUTE_PGM_RSRC2:TIDIG_COMP_CNT: 0
	.text
	.p2alignl 7, 3214868480
	.fill 96, 4, 3214868480
	.type	__hip_cuid_e02fae8babdb2b86,@object ; @__hip_cuid_e02fae8babdb2b86
	.section	.bss,"aw",@nobits
	.globl	__hip_cuid_e02fae8babdb2b86
__hip_cuid_e02fae8babdb2b86:
	.byte	0                               ; 0x0
	.size	__hip_cuid_e02fae8babdb2b86, 1

	.ident	"AMD clang version 19.0.0git (https://github.com/RadeonOpenCompute/llvm-project roc-6.4.0 25133 c7fe45cf4b819c5991fe208aaa96edf142730f1d)"
	.section	".note.GNU-stack","",@progbits
	.addrsig
	.addrsig_sym __hip_cuid_e02fae8babdb2b86
	.amdgpu_metadata
---
amdhsa.kernels:
  - .args:
      - .address_space:  global
        .offset:         0
        .size:           8
        .value_kind:     global_buffer
      - .address_space:  global
        .offset:         8
        .size:           8
        .value_kind:     global_buffer
      - .address_space:  global
        .offset:         16
        .size:           8
        .value_kind:     global_buffer
      - .offset:         24
        .size:           4
        .value_kind:     by_value
      - .offset:         32
        .size:           4
        .value_kind:     hidden_block_count_x
      - .offset:         36
        .size:           4
        .value_kind:     hidden_block_count_y
      - .offset:         40
        .size:           4
        .value_kind:     hidden_block_count_z
      - .offset:         44
        .size:           2
        .value_kind:     hidden_group_size_x
      - .offset:         46
        .size:           2
        .value_kind:     hidden_group_size_y
      - .offset:         48
        .size:           2
        .value_kind:     hidden_group_size_z
      - .offset:         50
        .size:           2
        .value_kind:     hidden_remainder_x
      - .offset:         52
        .size:           2
        .value_kind:     hidden_remainder_y
      - .offset:         54
        .size:           2
        .value_kind:     hidden_remainder_z
      - .offset:         72
        .size:           8
        .value_kind:     hidden_global_offset_x
      - .offset:         80
        .size:           8
        .value_kind:     hidden_global_offset_y
      - .offset:         88
        .size:           8
        .value_kind:     hidden_global_offset_z
      - .offset:         96
        .size:           2
        .value_kind:     hidden_grid_dims
    .group_segment_fixed_size: 512
    .kernarg_segment_align: 8
    .kernarg_segment_size: 288
    .language:       OpenCL C
    .language_version:
      - 2
      - 0
    .max_flat_workgroup_size: 1024
    .name:           _Z18LLGemm_Silu_kernelILi2EEvP15HIP_vector_typeIfLj4EEP7__half2PDF16_i
    .private_segment_fixed_size: 0
    .sgpr_count:     18
    .sgpr_spill_count: 0
    .symbol:         _Z18LLGemm_Silu_kernelILi2EEvP15HIP_vector_typeIfLj4EEP7__half2PDF16_i.kd
    .uniform_work_group_size: 1
    .uses_dynamic_stack: false
    .vgpr_count:     14
    .vgpr_spill_count: 0
    .wavefront_size: 32
    .workgroup_processor_mode: 1
  - .args:
      - .address_space:  global
        .offset:         0
        .size:           8
        .value_kind:     global_buffer
      - .address_space:  global
        .offset:         8
        .size:           8
        .value_kind:     global_buffer
      - .address_space:  global
        .offset:         16
        .size:           8
        .value_kind:     global_buffer
      - .offset:         24
        .size:           4
        .value_kind:     by_value
      - .offset:         32
        .size:           4
        .value_kind:     hidden_block_count_x
      - .offset:         36
        .size:           4
        .value_kind:     hidden_block_count_y
      - .offset:         40
        .size:           4
        .value_kind:     hidden_block_count_z
      - .offset:         44
        .size:           2
        .value_kind:     hidden_group_size_x
      - .offset:         46
        .size:           2
        .value_kind:     hidden_group_size_y
      - .offset:         48
        .size:           2
        .value_kind:     hidden_group_size_z
      - .offset:         50
        .size:           2
        .value_kind:     hidden_remainder_x
      - .offset:         52
        .size:           2
        .value_kind:     hidden_remainder_y
      - .offset:         54
        .size:           2
        .value_kind:     hidden_remainder_z
      - .offset:         72
        .size:           8
        .value_kind:     hidden_global_offset_x
      - .offset:         80
        .size:           8
        .value_kind:     hidden_global_offset_y
      - .offset:         88
        .size:           8
        .value_kind:     hidden_global_offset_z
      - .offset:         96
        .size:           2
        .value_kind:     hidden_grid_dims
    .group_segment_fixed_size: 1024
    .kernarg_segment_align: 8
    .kernarg_segment_size: 288
    .language:       OpenCL C
    .language_version:
      - 2
      - 0
    .max_flat_workgroup_size: 1024
    .name:           _Z18LLGemm_Silu_kernelILi4EEvP15HIP_vector_typeIfLj4EEP7__half2PDF16_i
    .private_segment_fixed_size: 0
    .sgpr_count:     18
    .sgpr_spill_count: 0
    .symbol:         _Z18LLGemm_Silu_kernelILi4EEvP15HIP_vector_typeIfLj4EEP7__half2PDF16_i.kd
    .uniform_work_group_size: 1
    .uses_dynamic_stack: false
    .vgpr_count:     23
    .vgpr_spill_count: 0
    .wavefront_size: 32
    .workgroup_processor_mode: 1
  - .args:
      - .address_space:  global
        .offset:         0
        .size:           8
        .value_kind:     global_buffer
      - .address_space:  global
        .offset:         8
        .size:           8
        .value_kind:     global_buffer
      - .address_space:  global
        .offset:         16
        .size:           8
        .value_kind:     global_buffer
      - .offset:         24
        .size:           4
        .value_kind:     by_value
      - .offset:         32
        .size:           4
        .value_kind:     hidden_block_count_x
      - .offset:         36
        .size:           4
        .value_kind:     hidden_block_count_y
      - .offset:         40
        .size:           4
        .value_kind:     hidden_block_count_z
      - .offset:         44
        .size:           2
        .value_kind:     hidden_group_size_x
      - .offset:         46
        .size:           2
        .value_kind:     hidden_group_size_y
      - .offset:         48
        .size:           2
        .value_kind:     hidden_group_size_z
      - .offset:         50
        .size:           2
        .value_kind:     hidden_remainder_x
      - .offset:         52
        .size:           2
        .value_kind:     hidden_remainder_y
      - .offset:         54
        .size:           2
        .value_kind:     hidden_remainder_z
      - .offset:         72
        .size:           8
        .value_kind:     hidden_global_offset_x
      - .offset:         80
        .size:           8
        .value_kind:     hidden_global_offset_y
      - .offset:         88
        .size:           8
        .value_kind:     hidden_global_offset_z
      - .offset:         96
        .size:           2
        .value_kind:     hidden_grid_dims
    .group_segment_fixed_size: 2048
    .kernarg_segment_align: 8
    .kernarg_segment_size: 288
    .language:       OpenCL C
    .language_version:
      - 2
      - 0
    .max_flat_workgroup_size: 1024
    .name:           _Z18LLGemm_Silu_kernelILi8EEvP15HIP_vector_typeIfLj4EEP7__half2PDF16_i
    .private_segment_fixed_size: 0
    .sgpr_count:     18
    .sgpr_spill_count: 0
    .symbol:         _Z18LLGemm_Silu_kernelILi8EEvP15HIP_vector_typeIfLj4EEP7__half2PDF16_i.kd
    .uniform_work_group_size: 1
    .uses_dynamic_stack: false
    .vgpr_count:     41
    .vgpr_spill_count: 0
    .wavefront_size: 32
    .workgroup_processor_mode: 1
  - .args:
      - .address_space:  global
        .offset:         0
        .size:           8
        .value_kind:     global_buffer
      - .address_space:  global
        .offset:         8
        .size:           8
        .value_kind:     global_buffer
      - .address_space:  global
        .offset:         16
        .size:           8
        .value_kind:     global_buffer
      - .offset:         24
        .size:           4
        .value_kind:     by_value
      - .offset:         32
        .size:           4
        .value_kind:     hidden_block_count_x
      - .offset:         36
        .size:           4
        .value_kind:     hidden_block_count_y
      - .offset:         40
        .size:           4
        .value_kind:     hidden_block_count_z
      - .offset:         44
        .size:           2
        .value_kind:     hidden_group_size_x
      - .offset:         46
        .size:           2
        .value_kind:     hidden_group_size_y
      - .offset:         48
        .size:           2
        .value_kind:     hidden_group_size_z
      - .offset:         50
        .size:           2
        .value_kind:     hidden_remainder_x
      - .offset:         52
        .size:           2
        .value_kind:     hidden_remainder_y
      - .offset:         54
        .size:           2
        .value_kind:     hidden_remainder_z
      - .offset:         72
        .size:           8
        .value_kind:     hidden_global_offset_x
      - .offset:         80
        .size:           8
        .value_kind:     hidden_global_offset_y
      - .offset:         88
        .size:           8
        .value_kind:     hidden_global_offset_z
      - .offset:         96
        .size:           2
        .value_kind:     hidden_grid_dims
    .group_segment_fixed_size: 4096
    .kernarg_segment_align: 8
    .kernarg_segment_size: 288
    .language:       OpenCL C
    .language_version:
      - 2
      - 0
    .max_flat_workgroup_size: 1024
    .name:           _Z18LLGemm_Silu_kernelILi16EEvP15HIP_vector_typeIfLj4EEP7__half2PDF16_i
    .private_segment_fixed_size: 0
    .sgpr_count:     18
    .sgpr_spill_count: 0
    .symbol:         _Z18LLGemm_Silu_kernelILi16EEvP15HIP_vector_typeIfLj4EEP7__half2PDF16_i.kd
    .uniform_work_group_size: 1
    .uses_dynamic_stack: false
    .vgpr_count:     79
    .vgpr_spill_count: 0
    .wavefront_size: 32
    .workgroup_processor_mode: 1
amdhsa.target:   amdgcn-amd-amdhsa--gfx1100
amdhsa.version:
  - 1
  - 2
...

	.end_amdgpu_metadata
